;; amdgpu-corpus repo=ROCm/rocFFT kind=compiled arch=gfx1030 opt=O3
	.text
	.amdgcn_target "amdgcn-amd-amdhsa--gfx1030"
	.amdhsa_code_object_version 6
	.protected	fft_rtc_fwd_len1224_factors_17_3_4_6_wgs_204_tpt_102_halfLds_sp_op_CI_CI_unitstride_sbrr_C2R_dirReg ; -- Begin function fft_rtc_fwd_len1224_factors_17_3_4_6_wgs_204_tpt_102_halfLds_sp_op_CI_CI_unitstride_sbrr_C2R_dirReg
	.globl	fft_rtc_fwd_len1224_factors_17_3_4_6_wgs_204_tpt_102_halfLds_sp_op_CI_CI_unitstride_sbrr_C2R_dirReg
	.p2align	8
	.type	fft_rtc_fwd_len1224_factors_17_3_4_6_wgs_204_tpt_102_halfLds_sp_op_CI_CI_unitstride_sbrr_C2R_dirReg,@function
fft_rtc_fwd_len1224_factors_17_3_4_6_wgs_204_tpt_102_halfLds_sp_op_CI_CI_unitstride_sbrr_C2R_dirReg: ; @fft_rtc_fwd_len1224_factors_17_3_4_6_wgs_204_tpt_102_halfLds_sp_op_CI_CI_unitstride_sbrr_C2R_dirReg
; %bb.0:
	s_clause 0x2
	s_load_dwordx4 s[12:15], s[4:5], 0x0
	s_load_dwordx4 s[8:11], s[4:5], 0x58
	;; [unrolled: 1-line block ×3, first 2 shown]
	v_mul_u32_u24_e32 v1, 0x283, v0
	v_mov_b32_e32 v3, 0
	v_lshrrev_b32_e32 v7, 16, v1
	v_mov_b32_e32 v1, 0
	v_mov_b32_e32 v6, v3
	v_mov_b32_e32 v2, 0
	v_lshl_add_u32 v5, s6, 1, v7
	s_waitcnt lgkmcnt(0)
	v_cmp_lt_u64_e64 s0, s[14:15], 2
	s_and_b32 vcc_lo, exec_lo, s0
	s_cbranch_vccnz .LBB0_8
; %bb.1:
	s_load_dwordx2 s[0:1], s[4:5], 0x10
	v_mov_b32_e32 v1, 0
	v_mov_b32_e32 v2, 0
	s_add_u32 s2, s18, 8
	s_addc_u32 s3, s19, 0
	s_add_u32 s6, s16, 8
	s_addc_u32 s7, s17, 0
	v_mov_b32_e32 v33, v2
	v_mov_b32_e32 v32, v1
	s_mov_b64 s[22:23], 1
	s_waitcnt lgkmcnt(0)
	s_add_u32 s20, s0, 8
	s_addc_u32 s21, s1, 0
.LBB0_2:                                ; =>This Inner Loop Header: Depth=1
	s_load_dwordx2 s[24:25], s[20:21], 0x0
                                        ; implicit-def: $vgpr36_vgpr37
	s_mov_b32 s0, exec_lo
	s_waitcnt lgkmcnt(0)
	v_or_b32_e32 v4, s25, v6
	v_cmpx_ne_u64_e32 0, v[3:4]
	s_xor_b32 s1, exec_lo, s0
	s_cbranch_execz .LBB0_4
; %bb.3:                                ;   in Loop: Header=BB0_2 Depth=1
	v_cvt_f32_u32_e32 v4, s24
	v_cvt_f32_u32_e32 v8, s25
	s_sub_u32 s0, 0, s24
	s_subb_u32 s26, 0, s25
	v_fmac_f32_e32 v4, 0x4f800000, v8
	v_rcp_f32_e32 v4, v4
	v_mul_f32_e32 v4, 0x5f7ffffc, v4
	v_mul_f32_e32 v8, 0x2f800000, v4
	v_trunc_f32_e32 v8, v8
	v_fmac_f32_e32 v4, 0xcf800000, v8
	v_cvt_u32_f32_e32 v8, v8
	v_cvt_u32_f32_e32 v4, v4
	v_mul_lo_u32 v9, s0, v8
	v_mul_hi_u32 v10, s0, v4
	v_mul_lo_u32 v11, s26, v4
	v_add_nc_u32_e32 v9, v10, v9
	v_mul_lo_u32 v10, s0, v4
	v_add_nc_u32_e32 v9, v9, v11
	v_mul_hi_u32 v11, v4, v10
	v_mul_lo_u32 v12, v4, v9
	v_mul_hi_u32 v13, v4, v9
	v_mul_hi_u32 v14, v8, v10
	v_mul_lo_u32 v10, v8, v10
	v_mul_hi_u32 v15, v8, v9
	v_mul_lo_u32 v9, v8, v9
	v_add_co_u32 v11, vcc_lo, v11, v12
	v_add_co_ci_u32_e32 v12, vcc_lo, 0, v13, vcc_lo
	v_add_co_u32 v10, vcc_lo, v11, v10
	v_add_co_ci_u32_e32 v10, vcc_lo, v12, v14, vcc_lo
	v_add_co_ci_u32_e32 v11, vcc_lo, 0, v15, vcc_lo
	v_add_co_u32 v9, vcc_lo, v10, v9
	v_add_co_ci_u32_e32 v10, vcc_lo, 0, v11, vcc_lo
	v_add_co_u32 v4, vcc_lo, v4, v9
	v_add_co_ci_u32_e32 v8, vcc_lo, v8, v10, vcc_lo
	v_mul_hi_u32 v9, s0, v4
	v_mul_lo_u32 v11, s26, v4
	v_mul_lo_u32 v10, s0, v8
	v_add_nc_u32_e32 v9, v9, v10
	v_mul_lo_u32 v10, s0, v4
	v_add_nc_u32_e32 v9, v9, v11
	v_mul_hi_u32 v11, v4, v10
	v_mul_lo_u32 v12, v4, v9
	v_mul_hi_u32 v13, v4, v9
	v_mul_hi_u32 v14, v8, v10
	v_mul_lo_u32 v10, v8, v10
	v_mul_hi_u32 v15, v8, v9
	v_mul_lo_u32 v9, v8, v9
	v_add_co_u32 v11, vcc_lo, v11, v12
	v_add_co_ci_u32_e32 v12, vcc_lo, 0, v13, vcc_lo
	v_add_co_u32 v10, vcc_lo, v11, v10
	v_add_co_ci_u32_e32 v10, vcc_lo, v12, v14, vcc_lo
	v_add_co_ci_u32_e32 v11, vcc_lo, 0, v15, vcc_lo
	v_add_co_u32 v9, vcc_lo, v10, v9
	v_add_co_ci_u32_e32 v10, vcc_lo, 0, v11, vcc_lo
	v_add_co_u32 v4, vcc_lo, v4, v9
	v_add_co_ci_u32_e32 v12, vcc_lo, v8, v10, vcc_lo
	v_mul_hi_u32 v14, v5, v4
	v_mad_u64_u32 v[10:11], null, v6, v4, 0
	v_mad_u64_u32 v[8:9], null, v5, v12, 0
	v_mad_u64_u32 v[12:13], null, v6, v12, 0
	v_add_co_u32 v4, vcc_lo, v14, v8
	v_add_co_ci_u32_e32 v8, vcc_lo, 0, v9, vcc_lo
	v_add_co_u32 v4, vcc_lo, v4, v10
	v_add_co_ci_u32_e32 v4, vcc_lo, v8, v11, vcc_lo
	v_add_co_ci_u32_e32 v8, vcc_lo, 0, v13, vcc_lo
	v_add_co_u32 v4, vcc_lo, v4, v12
	v_add_co_ci_u32_e32 v10, vcc_lo, 0, v8, vcc_lo
	v_mul_lo_u32 v11, s25, v4
	v_mad_u64_u32 v[8:9], null, s24, v4, 0
	v_mul_lo_u32 v12, s24, v10
	v_sub_co_u32 v8, vcc_lo, v5, v8
	v_add3_u32 v9, v9, v12, v11
	v_sub_nc_u32_e32 v11, v6, v9
	v_subrev_co_ci_u32_e64 v11, s0, s25, v11, vcc_lo
	v_add_co_u32 v12, s0, v4, 2
	v_add_co_ci_u32_e64 v13, s0, 0, v10, s0
	v_sub_co_u32 v14, s0, v8, s24
	v_sub_co_ci_u32_e32 v9, vcc_lo, v6, v9, vcc_lo
	v_subrev_co_ci_u32_e64 v11, s0, 0, v11, s0
	v_cmp_le_u32_e32 vcc_lo, s24, v14
	v_cmp_eq_u32_e64 s0, s25, v9
	v_cndmask_b32_e64 v14, 0, -1, vcc_lo
	v_cmp_le_u32_e32 vcc_lo, s25, v11
	v_cndmask_b32_e64 v15, 0, -1, vcc_lo
	v_cmp_le_u32_e32 vcc_lo, s24, v8
	;; [unrolled: 2-line block ×3, first 2 shown]
	v_cndmask_b32_e64 v16, 0, -1, vcc_lo
	v_cmp_eq_u32_e32 vcc_lo, s25, v11
	v_cndmask_b32_e64 v8, v16, v8, s0
	v_cndmask_b32_e32 v11, v15, v14, vcc_lo
	v_add_co_u32 v14, vcc_lo, v4, 1
	v_add_co_ci_u32_e32 v15, vcc_lo, 0, v10, vcc_lo
	v_cmp_ne_u32_e32 vcc_lo, 0, v11
	v_cndmask_b32_e32 v9, v15, v13, vcc_lo
	v_cndmask_b32_e32 v11, v14, v12, vcc_lo
	v_cmp_ne_u32_e32 vcc_lo, 0, v8
	v_cndmask_b32_e32 v37, v10, v9, vcc_lo
	v_cndmask_b32_e32 v36, v4, v11, vcc_lo
.LBB0_4:                                ;   in Loop: Header=BB0_2 Depth=1
	s_andn2_saveexec_b32 s0, s1
	s_cbranch_execz .LBB0_6
; %bb.5:                                ;   in Loop: Header=BB0_2 Depth=1
	v_cvt_f32_u32_e32 v4, s24
	s_sub_i32 s1, 0, s24
	v_mov_b32_e32 v37, v3
	v_rcp_iflag_f32_e32 v4, v4
	v_mul_f32_e32 v4, 0x4f7ffffe, v4
	v_cvt_u32_f32_e32 v4, v4
	v_mul_lo_u32 v8, s1, v4
	v_mul_hi_u32 v8, v4, v8
	v_add_nc_u32_e32 v4, v4, v8
	v_mul_hi_u32 v4, v5, v4
	v_mul_lo_u32 v8, v4, s24
	v_add_nc_u32_e32 v9, 1, v4
	v_sub_nc_u32_e32 v8, v5, v8
	v_subrev_nc_u32_e32 v10, s24, v8
	v_cmp_le_u32_e32 vcc_lo, s24, v8
	v_cndmask_b32_e32 v8, v8, v10, vcc_lo
	v_cndmask_b32_e32 v4, v4, v9, vcc_lo
	v_cmp_le_u32_e32 vcc_lo, s24, v8
	v_add_nc_u32_e32 v9, 1, v4
	v_cndmask_b32_e32 v36, v4, v9, vcc_lo
.LBB0_6:                                ;   in Loop: Header=BB0_2 Depth=1
	s_or_b32 exec_lo, exec_lo, s0
	v_mul_lo_u32 v4, v37, s24
	v_mul_lo_u32 v10, v36, s25
	s_load_dwordx2 s[0:1], s[6:7], 0x0
	v_mad_u64_u32 v[8:9], null, v36, s24, 0
	s_load_dwordx2 s[24:25], s[2:3], 0x0
	s_add_u32 s22, s22, 1
	s_addc_u32 s23, s23, 0
	s_add_u32 s2, s2, 8
	s_addc_u32 s3, s3, 0
	s_add_u32 s6, s6, 8
	v_add3_u32 v4, v9, v10, v4
	v_sub_co_u32 v5, vcc_lo, v5, v8
	s_addc_u32 s7, s7, 0
	s_add_u32 s20, s20, 8
	v_sub_co_ci_u32_e32 v4, vcc_lo, v6, v4, vcc_lo
	s_addc_u32 s21, s21, 0
	s_waitcnt lgkmcnt(0)
	v_mul_lo_u32 v6, s0, v4
	v_mul_lo_u32 v8, s1, v5
	v_mad_u64_u32 v[1:2], null, s0, v5, v[1:2]
	v_mul_lo_u32 v4, s24, v4
	v_mul_lo_u32 v9, s25, v5
	v_mad_u64_u32 v[32:33], null, s24, v5, v[32:33]
	v_cmp_ge_u64_e64 s0, s[22:23], s[14:15]
	v_add3_u32 v2, v8, v2, v6
	v_add3_u32 v33, v9, v33, v4
	s_and_b32 vcc_lo, exec_lo, s0
	s_cbranch_vccnz .LBB0_9
; %bb.7:                                ;   in Loop: Header=BB0_2 Depth=1
	v_mov_b32_e32 v5, v36
	v_mov_b32_e32 v6, v37
	s_branch .LBB0_2
.LBB0_8:
	v_mov_b32_e32 v33, v2
	v_mov_b32_e32 v37, v6
	;; [unrolled: 1-line block ×4, first 2 shown]
.LBB0_9:
	s_load_dwordx2 s[0:1], s[4:5], 0x28
	v_and_b32_e32 v4, 1, v7
	v_mul_hi_u32 v3, 0x2828283, v0
	s_lshl_b64 s[4:5], s[14:15], 3
                                        ; implicit-def: $vgpr34
	s_add_u32 s2, s18, s4
	s_addc_u32 s3, s19, s5
	s_waitcnt lgkmcnt(0)
	v_cmp_gt_u64_e32 vcc_lo, s[0:1], v[36:37]
	v_cmp_le_u64_e64 s1, s[0:1], v[36:37]
	v_cmp_eq_u32_e64 s0, 1, v4
	s_and_saveexec_b32 s6, s1
	s_xor_b32 s1, exec_lo, s6
; %bb.10:
	v_mul_u32_u24_e32 v1, 0x66, v3
                                        ; implicit-def: $vgpr3
	v_sub_nc_u32_e32 v34, v0, v1
                                        ; implicit-def: $vgpr0
                                        ; implicit-def: $vgpr1_vgpr2
; %bb.11:
	s_or_saveexec_b32 s1, s1
	s_load_dwordx2 s[2:3], s[2:3], 0x0
	v_cndmask_b32_e64 v4, 0, 0x4c9, s0
	v_lshlrev_b32_e32 v42, 3, v4
	s_xor_b32 exec_lo, exec_lo, s1
	s_cbranch_execz .LBB0_15
; %bb.12:
	s_add_u32 s4, s16, s4
	s_addc_u32 s5, s17, s5
	v_mul_u32_u24_e32 v3, 0x66, v3
	s_load_dwordx2 s[4:5], s[4:5], 0x0
	v_lshlrev_b64 v[1:2], 3, v[1:2]
	v_sub_nc_u32_e32 v34, v0, v3
	v_lshlrev_b32_e32 v29, 3, v34
	s_waitcnt lgkmcnt(0)
	v_mul_lo_u32 v7, s5, v36
	v_mul_lo_u32 v8, s4, v37
	v_mad_u64_u32 v[5:6], null, s4, v36, 0
	s_mov_b32 s4, exec_lo
	v_add3_u32 v6, v6, v8, v7
	v_lshlrev_b64 v[5:6], 3, v[5:6]
	v_add_co_u32 v0, s0, s8, v5
	v_add_co_ci_u32_e64 v3, s0, s9, v6, s0
	v_add_co_u32 v0, s0, v0, v1
	v_add_co_ci_u32_e64 v1, s0, v3, v2, s0
	v_add_co_u32 v2, s0, v0, v29
	v_add_co_ci_u32_e64 v3, s0, 0, v1, s0
	v_add_co_u32 v5, s0, 0x800, v2
	v_add_co_ci_u32_e64 v6, s0, 0, v3, s0
	v_add_co_u32 v7, s0, 0x1000, v2
	v_add_co_ci_u32_e64 v8, s0, 0, v3, s0
	v_add_co_u32 v9, s0, 0x1800, v2
	v_add_co_ci_u32_e64 v10, s0, 0, v3, s0
	v_add_co_u32 v11, s0, 0x2000, v2
	v_add_co_ci_u32_e64 v12, s0, 0, v3, s0
	s_clause 0xb
	global_load_dwordx2 v[13:14], v[2:3], off
	global_load_dwordx2 v[15:16], v[2:3], off offset:816
	global_load_dwordx2 v[17:18], v[2:3], off offset:1632
	;; [unrolled: 1-line block ×11, first 2 shown]
	v_add3_u32 v2, 0, v42, v29
	v_add_nc_u32_e32 v3, 0x400, v2
	v_add_nc_u32_e32 v29, 0x800, v2
	;; [unrolled: 1-line block ×5, first 2 shown]
	s_waitcnt vmcnt(10)
	ds_write2_b64 v2, v[13:14], v[15:16] offset1:102
	s_waitcnt vmcnt(8)
	ds_write2_b64 v3, v[17:18], v[19:20] offset0:76 offset1:178
	s_waitcnt vmcnt(6)
	ds_write2_b64 v29, v[21:22], v[5:6] offset0:152 offset1:254
	;; [unrolled: 2-line block ×5, first 2 shown]
	v_cmpx_eq_u32_e32 0x65, v34
	s_cbranch_execz .LBB0_14
; %bb.13:
	v_add_co_u32 v0, s0, 0x2000, v0
	v_add_co_ci_u32_e64 v1, s0, 0, v1, s0
	v_mov_b32_e32 v34, 0x65
	global_load_dwordx2 v[0:1], v[0:1], off offset:1600
	s_waitcnt vmcnt(0)
	ds_write_b64 v2, v[0:1] offset:8984
.LBB0_14:
	s_or_b32 exec_lo, exec_lo, s4
.LBB0_15:
	s_or_b32 exec_lo, exec_lo, s1
	v_lshl_add_u32 v40, v4, 3, 0
	v_lshlrev_b32_e32 v0, 3, v34
	s_waitcnt lgkmcnt(0)
	s_barrier
	buffer_gl0_inv
	s_add_u32 s1, s12, 0x25b8
	v_add_nc_u32_e32 v41, v40, v0
	v_sub_nc_u32_e32 v5, v40, v0
	s_addc_u32 s4, s13, 0
	s_mov_b32 s5, exec_lo
	ds_read_b32 v6, v41
	ds_read_b32 v7, v5 offset:9792
                                        ; implicit-def: $vgpr2_vgpr3
	s_waitcnt lgkmcnt(0)
	v_add_f32_e32 v0, v7, v6
	v_sub_f32_e32 v1, v6, v7
	v_cmpx_ne_u32_e32 0, v34
	s_xor_b32 s5, exec_lo, s5
	s_cbranch_execz .LBB0_17
; %bb.16:
	v_mov_b32_e32 v35, 0
	v_add_f32_e32 v8, v7, v6
	v_sub_f32_e32 v9, v6, v7
	v_lshlrev_b64 v[0:1], 3, v[34:35]
	v_add_co_u32 v0, s0, s1, v0
	v_add_co_ci_u32_e64 v1, s0, s4, v1, s0
	global_load_dwordx2 v[2:3], v[0:1], off
	ds_read_b32 v0, v5 offset:9796
	ds_read_b32 v1, v41 offset:4
	s_waitcnt lgkmcnt(0)
	v_add_f32_e32 v10, v0, v1
	v_sub_f32_e32 v0, v1, v0
	s_waitcnt vmcnt(0)
	v_fma_f32 v6, -v9, v3, v8
	v_fma_f32 v7, v10, v3, -v0
	v_fma_f32 v11, v9, v3, v8
	v_fma_f32 v1, v10, v3, v0
	v_fmac_f32_e32 v6, v2, v10
	v_fmac_f32_e32 v7, v9, v2
	v_fma_f32 v0, -v2, v10, v11
	v_fmac_f32_e32 v1, v9, v2
	v_mov_b32_e32 v2, v34
	v_mov_b32_e32 v3, v35
	ds_write_b64 v5, v[6:7] offset:9792
.LBB0_17:
	s_andn2_saveexec_b32 s0, s5
	s_cbranch_execz .LBB0_19
; %bb.18:
	ds_read_b64 v[2:3], v40 offset:4896
	s_waitcnt lgkmcnt(0)
	v_add_f32_e32 v6, v2, v2
	v_mul_f32_e32 v7, -2.0, v3
	v_mov_b32_e32 v2, 0
	v_mov_b32_e32 v3, 0
	ds_write_b64 v40, v[6:7] offset:4896
.LBB0_19:
	s_or_b32 exec_lo, exec_lo, s0
	v_lshlrev_b64 v[2:3], 3, v[2:3]
	v_lshl_add_u32 v43, v34, 3, 0
	v_lshl_add_u32 v35, v4, 3, v43
	v_add_co_u32 v2, s0, s1, v2
	v_add_co_ci_u32_e64 v3, s0, s4, v3, s0
	v_add_nc_u32_e32 v44, 0x800, v35
	v_add_nc_u32_e32 v45, 0xc00, v35
	s_clause 0x1
	global_load_dwordx2 v[6:7], v[2:3], off offset:816
	global_load_dwordx2 v[8:9], v[2:3], off offset:1632
	v_add_co_u32 v2, s0, 0x800, v2
	v_add_co_ci_u32_e64 v3, s0, 0, v3, s0
	v_add_nc_u32_e32 v46, 0x1800, v35
	s_clause 0x2
	global_load_dwordx2 v[10:11], v[2:3], off offset:400
	global_load_dwordx2 v[12:13], v[2:3], off offset:1216
	;; [unrolled: 1-line block ×3, first 2 shown]
	ds_write_b64 v41, v[0:1]
	ds_read_b64 v[0:1], v41 offset:816
	ds_read_b64 v[14:15], v5 offset:8976
	s_mov_b32 s1, exec_lo
	s_waitcnt lgkmcnt(0)
	v_add_f32_e32 v16, v0, v14
	v_add_f32_e32 v17, v15, v1
	v_sub_f32_e32 v18, v0, v14
	v_sub_f32_e32 v0, v1, v15
	s_waitcnt vmcnt(4)
	v_fma_f32 v19, v18, v7, v16
	v_fma_f32 v1, v17, v7, v0
	v_fma_f32 v14, -v18, v7, v16
	v_fma_f32 v15, v17, v7, -v0
	v_fma_f32 v0, -v6, v17, v19
	v_fmac_f32_e32 v1, v18, v6
	v_fmac_f32_e32 v14, v6, v17
	v_fmac_f32_e32 v15, v18, v6
	ds_write_b64 v41, v[0:1] offset:816
	ds_write_b64 v5, v[14:15] offset:8976
	ds_read_b64 v[0:1], v41 offset:1632
	ds_read_b64 v[6:7], v5 offset:8160
	s_waitcnt lgkmcnt(0)
	v_add_f32_e32 v14, v0, v6
	v_add_f32_e32 v15, v7, v1
	v_sub_f32_e32 v16, v0, v6
	v_sub_f32_e32 v0, v1, v7
	s_waitcnt vmcnt(3)
	v_fma_f32 v17, v16, v9, v14
	v_fma_f32 v1, v15, v9, v0
	v_fma_f32 v6, -v16, v9, v14
	v_fma_f32 v7, v15, v9, -v0
	v_fma_f32 v0, -v8, v15, v17
	v_fmac_f32_e32 v1, v16, v8
	v_fmac_f32_e32 v6, v8, v15
	v_fmac_f32_e32 v7, v16, v8
	ds_write_b64 v41, v[0:1] offset:1632
	ds_write_b64 v5, v[6:7] offset:8160
	ds_read_b64 v[0:1], v41 offset:2448
	ds_read_b64 v[6:7], v5 offset:7344
	;; [unrolled: 18-line block ×4, first 2 shown]
	v_add_nc_u32_e32 v10, 0x400, v35
	s_waitcnt lgkmcnt(0)
	v_add_f32_e32 v4, v0, v6
	v_add_f32_e32 v8, v7, v1
	v_sub_f32_e32 v9, v0, v6
	v_sub_f32_e32 v0, v1, v7
	s_waitcnt vmcnt(0)
	v_fma_f32 v11, v9, v3, v4
	v_fma_f32 v1, v8, v3, v0
	v_fma_f32 v6, -v9, v3, v4
	v_fma_f32 v7, v8, v3, -v0
	v_add_nc_u32_e32 v3, 0x2000, v35
	v_fma_f32 v0, -v2, v8, v11
	v_fmac_f32_e32 v1, v9, v2
	v_fmac_f32_e32 v6, v2, v8
	;; [unrolled: 1-line block ×3, first 2 shown]
	v_add_nc_u32_e32 v2, 0x1000, v35
	ds_write_b64 v41, v[0:1] offset:4080
	ds_write_b64 v5, v[6:7] offset:5712
	s_waitcnt lgkmcnt(0)
	s_barrier
	buffer_gl0_inv
	s_barrier
	buffer_gl0_inv
	ds_read_b64 v[38:39], v41
	ds_read2_b64 v[20:23], v35 offset0:72 offset1:144
	ds_read2_b64 v[8:11], v10 offset0:88 offset1:160
	;; [unrolled: 1-line block ×8, first 2 shown]
	s_waitcnt lgkmcnt(0)
	s_barrier
	buffer_gl0_inv
	v_cmpx_gt_u32_e32 0x48, v34
	s_cbranch_execz .LBB0_21
; %bb.20:
	v_add_f32_e32 v48, v3, v21
	v_add_f32_e32 v50, v39, v21
	;; [unrolled: 1-line block ×3, first 2 shown]
	v_sub_f32_e32 v49, v20, v2
	v_add_f32_e32 v47, v1, v23
	v_mul_f32_e32 v65, 0xbf59a7d5, v48
	v_add_f32_e32 v50, v50, v23
	v_add_f32_e32 v51, v51, v22
	v_sub_f32_e32 v59, v22, v0
	v_mul_f32_e32 v66, 0x3ee437d1, v47
	v_fmamk_f32 v52, v49, 0x3f06c442, v65
	v_add_f32_e32 v53, v7, v9
	v_add_f32_e32 v50, v50, v9
	;; [unrolled: 1-line block ×3, first 2 shown]
	v_fmamk_f32 v54, v59, 0xbf65296c, v66
	v_add_f32_e32 v52, v39, v52
	v_sub_f32_e32 v60, v8, v6
	v_mul_f32_e32 v67, 0x3dbcf732, v53
	v_add_f32_e32 v50, v50, v11
	v_add_f32_e32 v51, v51, v10
	;; [unrolled: 1-line block ×4, first 2 shown]
	v_fmamk_f32 v55, v60, 0x3f7ee86f, v67
	v_add_f32_e32 v50, v50, v17
	v_add_f32_e32 v51, v51, v16
	v_sub_f32_e32 v61, v10, v4
	v_mul_f32_e32 v68, 0xbf1a4643, v54
	v_add_f32_e32 v64, v55, v52
	v_add_f32_e32 v50, v50, v19
	;; [unrolled: 1-line block ×5, first 2 shown]
	v_sub_f32_e32 v57, v28, v26
	v_add_f32_e32 v58, v50, v29
	v_add_f32_e32 v62, v52, v28
	;; [unrolled: 1-line block ×3, first 2 shown]
	v_sub_f32_e32 v56, v30, v24
	v_add_f32_e32 v52, v26, v28
	v_add_f32_e32 v63, v58, v31
	;; [unrolled: 1-line block ×3, first 2 shown]
	v_sub_f32_e32 v58, v29, v27
	v_sub_f32_e32 v29, v31, v25
	;; [unrolled: 1-line block ×3, first 2 shown]
	v_add_f32_e32 v25, v63, v25
	v_add_f32_e32 v62, v62, v24
	;; [unrolled: 1-line block ×3, first 2 shown]
	v_sub_f32_e32 v30, v16, v14
	v_mul_f32_e32 v70, 0xbf06c442, v31
	v_add_f32_e32 v63, v25, v27
	v_add_f32_e32 v69, v62, v26
	v_add_f32_e32 v25, v2, v20
	v_sub_f32_e32 v62, v23, v1
	v_add_f32_e32 v24, v13, v19
	v_sub_f32_e32 v26, v18, v12
	v_add_f32_e32 v21, v0, v22
	v_add_f32_e32 v20, v14, v16
	v_sub_f32_e32 v27, v17, v15
	v_add_f32_e32 v18, v12, v18
	v_sub_f32_e32 v23, v19, v13
	v_add_f32_e32 v13, v63, v13
	v_add_f32_e32 v12, v69, v12
	v_fmamk_f32 v16, v61, 0xbf4c4adb, v68
	v_fmamk_f32 v17, v25, 0xbf59a7d5, v70
	v_mul_f32_e32 v69, 0x3f65296c, v62
	v_sub_f32_e32 v63, v9, v7
	v_add_f32_e32 v13, v13, v15
	v_add_f32_e32 v12, v12, v14
	;; [unrolled: 1-line block ×3, first 2 shown]
	v_fmamk_f32 v14, v21, 0x3ee437d1, v69
	v_add_f32_e32 v15, v16, v64
	v_add_f32_e32 v22, v6, v8
	v_mul_f32_e32 v8, 0xbf7ee86f, v63
	v_sub_f32_e32 v64, v11, v5
	v_add_f32_e32 v9, v14, v9
	v_add_f32_e32 v19, v4, v10
	;; [unrolled: 1-line block ×3, first 2 shown]
	v_fmamk_f32 v10, v22, 0x3dbcf732, v8
	v_mul_f32_e32 v13, 0x3f4c4adb, v64
	v_add_f32_e32 v4, v12, v4
	v_mul_f32_e32 v12, 0xbeb8f4ab, v27
	v_add_f32_e32 v5, v5, v7
	v_add_f32_e32 v9, v10, v9
	v_fmamk_f32 v7, v19, 0xbf1a4643, v13
	v_add_f32_e32 v4, v4, v6
	v_mul_f32_e32 v14, 0xbe3c28d5, v23
	v_add_f32_e32 v1, v5, v1
	v_mul_f32_e32 v5, 0xbf7ba420, v48
	v_add_f32_e32 v7, v7, v9
	v_fmamk_f32 v9, v20, 0x3f6eb680, v12
	v_add_f32_e32 v0, v4, v0
	v_mul_f32_e32 v17, 0x3f6eb680, v47
	v_mul_f32_e32 v73, 0xbf59a7d5, v53
	;; [unrolled: 1-line block ×3, first 2 shown]
	v_add_f32_e32 v4, v9, v7
	v_add_f32_e32 v0, v0, v2
	v_fmamk_f32 v2, v18, 0xbf7ba420, v14
	v_mul_f32_e32 v9, 0x3f2c7751, v58
	v_fmamk_f32 v7, v49, 0x3e3c28d5, v5
	v_fmamk_f32 v72, v59, 0xbeb8f4ab, v17
	v_mul_f32_e32 v75, 0x3f3d2fb0, v54
	v_add_f32_e32 v2, v2, v4
	v_fmamk_f32 v4, v52, 0x3f3d2fb0, v9
	v_add_f32_e32 v7, v39, v7
	v_mul_f32_e32 v76, 0x3eb8f4ab, v62
	v_mul_f32_e32 v16, 0x3f6eb680, v55
	;; [unrolled: 1-line block ×3, first 2 shown]
	v_add_f32_e32 v2, v4, v2
	v_add_f32_e32 v7, v72, v7
	v_fmamk_f32 v72, v60, 0x3f06c442, v73
	v_fmamk_f32 v4, v25, 0xbf7ba420, v74
	;; [unrolled: 1-line block ×3, first 2 shown]
	v_mul_f32_e32 v79, 0xbf06c442, v63
	v_fmamk_f32 v11, v30, 0x3eb8f4ab, v16
	v_add_f32_e32 v7, v72, v7
	v_fmamk_f32 v72, v61, 0xbf2c7751, v75
	v_add_f32_e32 v4, v38, v4
	v_mul_f32_e32 v10, 0xbf7ba420, v24
	v_mul_f32_e32 v80, 0x3ee437d1, v24
	;; [unrolled: 1-line block ×3, first 2 shown]
	v_add_f32_e32 v7, v72, v7
	v_fmamk_f32 v72, v30, 0x3f4c4adb, v77
	v_add_f32_e32 v4, v78, v4
	v_fmamk_f32 v78, v22, 0xbf59a7d5, v79
	;; [unrolled: 2-line block ×3, first 2 shown]
	v_mul_f32_e32 v15, 0x3f3d2fb0, v51
	v_add_f32_e32 v7, v72, v7
	v_fmamk_f32 v72, v26, 0xbf65296c, v80
	v_add_f32_e32 v4, v78, v4
	v_fmamk_f32 v78, v19, 0x3f3d2fb0, v81
	v_mul_f32_e32 v83, 0xbf4c4adb, v27
	v_add_f32_e32 v1, v1, v3
	v_add_f32_e32 v3, v11, v6
	v_fmamk_f32 v6, v57, 0xbf2c7751, v15
	v_mul_f32_e32 v11, 0xbe8c1d8e, v50
	v_add_f32_e32 v7, v72, v7
	v_add_f32_e32 v4, v78, v4
	v_fmamk_f32 v72, v20, 0xbf1a4643, v83
	v_mul_f32_e32 v78, 0x3f65296c, v23
	v_mul_f32_e32 v71, 0xbf763a35, v29
	v_add_f32_e32 v3, v6, v3
	v_fmamk_f32 v6, v56, 0x3f763a35, v11
	v_fmac_f32_e32 v5, 0xbe3c28d5, v49
	v_add_f32_e32 v4, v72, v4
	v_fmamk_f32 v72, v18, 0x3ee437d1, v78
	v_fma_f32 v74, 0xbf7ba420, v25, -v74
	v_fmamk_f32 v82, v28, 0xbe8c1d8e, v71
	v_add_f32_e32 v3, v6, v3
	v_mul_f32_e32 v6, 0xbe8c1d8e, v51
	v_add_f32_e32 v5, v39, v5
	v_fmac_f32_e32 v17, 0x3eb8f4ab, v59
	v_add_f32_e32 v4, v72, v4
	v_mul_f32_e32 v72, 0xbf763a35, v58
	v_add_f32_e32 v74, v38, v74
	v_fma_f32 v76, 0x3f6eb680, v21, -v76
	v_fmamk_f32 v84, v57, 0x3f763a35, v6
	v_add_f32_e32 v2, v82, v2
	v_add_f32_e32 v5, v17, v5
	v_fmac_f32_e32 v73, 0xbf06c442, v60
	v_fmamk_f32 v17, v52, 0xbe8c1d8e, v72
	v_mul_f32_e32 v82, 0x3dbcf732, v50
	v_add_f32_e32 v74, v76, v74
	v_fma_f32 v76, 0xbf59a7d5, v22, -v79
	v_add_f32_e32 v7, v84, v7
	v_add_f32_e32 v5, v73, v5
	v_fmac_f32_e32 v75, 0x3f2c7751, v61
	v_add_f32_e32 v4, v17, v4
	v_fmamk_f32 v17, v56, 0xbf7ee86f, v82
	v_add_f32_e32 v73, v76, v74
	v_fma_f32 v74, 0x3f3d2fb0, v19, -v81
	v_fmac_f32_e32 v65, 0xbf06c442, v49
	v_add_f32_e32 v75, v75, v5
	v_fmac_f32_e32 v77, 0xbf4c4adb, v30
	v_add_f32_e32 v5, v17, v7
	v_add_f32_e32 v17, v74, v73
	v_fma_f32 v73, 0xbf1a4643, v20, -v83
	v_add_f32_e32 v65, v39, v65
	v_fmac_f32_e32 v66, 0x3f65296c, v59
	v_add_f32_e32 v74, v77, v75
	v_fmac_f32_e32 v80, 0x3f65296c, v26
	v_add_f32_e32 v17, v73, v17
	v_fma_f32 v73, 0x3ee437d1, v18, -v78
	v_add_f32_e32 v65, v66, v65
	v_fmac_f32_e32 v67, 0xbf7ee86f, v60
	v_mul_f32_e32 v7, 0x3f7ee86f, v29
	v_add_f32_e32 v74, v80, v74
	v_fmac_f32_e32 v6, 0xbf763a35, v57
	v_add_f32_e32 v17, v73, v17
	v_fma_f32 v72, 0xbe8c1d8e, v52, -v72
	v_fma_f32 v66, 0xbf59a7d5, v25, -v70
	v_add_f32_e32 v65, v67, v65
	v_fmac_f32_e32 v68, 0x3f4c4adb, v61
	v_add_f32_e32 v6, v6, v74
	v_add_f32_e32 v17, v72, v17
	v_fmac_f32_e32 v82, 0x3f7ee86f, v56
	v_fma_f32 v67, 0x3dbcf732, v28, -v7
	v_add_f32_e32 v66, v38, v66
	v_fma_f32 v69, 0x3ee437d1, v21, -v69
	v_add_f32_e32 v65, v68, v65
	v_fmac_f32_e32 v16, 0xbeb8f4ab, v30
	v_mul_f32_e32 v79, 0xbf4c4adb, v49
	v_fmamk_f32 v75, v28, 0x3dbcf732, v7
	v_add_f32_e32 v7, v82, v6
	v_add_f32_e32 v6, v67, v17
	;; [unrolled: 1-line block ×3, first 2 shown]
	v_fma_f32 v8, 0x3dbcf732, v22, -v8
	v_add_f32_e32 v16, v16, v65
	v_fmamk_f32 v65, v48, 0xbf1a4643, v79
	v_mul_f32_e32 v68, 0x3f763a35, v59
	v_fmac_f32_e32 v10, 0xbe3c28d5, v26
	v_add_f32_e32 v8, v8, v17
	v_fma_f32 v13, 0xbf1a4643, v19, -v13
	v_add_f32_e32 v17, v39, v65
	v_fmamk_f32 v65, v47, 0xbe8c1d8e, v68
	v_mul_f32_e32 v66, 0xbeb8f4ab, v60
	v_add_f32_e32 v10, v10, v16
	v_add_f32_e32 v8, v13, v8
	v_fma_f32 v12, 0x3f6eb680, v20, -v12
	v_add_f32_e32 v13, v65, v17
	v_fmamk_f32 v16, v53, 0x3f6eb680, v66
	v_mul_f32_e32 v80, 0xbf4c4adb, v31
	v_fmac_f32_e32 v15, 0x3f2c7751, v57
	v_add_f32_e32 v8, v12, v8
	v_fma_f32 v12, 0xbf7ba420, v18, -v14
	v_add_f32_e32 v13, v16, v13
	v_fma_f32 v16, 0xbf1a4643, v25, -v80
	v_mul_f32_e32 v81, 0x3f763a35, v62
	v_mul_f32_e32 v65, 0xbf06c442, v61
	v_add_f32_e32 v10, v15, v10
	v_add_f32_e32 v8, v12, v8
	;; [unrolled: 1-line block ×3, first 2 shown]
	v_fma_f32 v15, 0xbe8c1d8e, v21, -v81
	v_mul_f32_e32 v82, 0xbeb8f4ab, v63
	v_fmamk_f32 v14, v54, 0xbf59a7d5, v65
	v_mul_f32_e32 v70, 0x3f7ee86f, v30
	v_fma_f32 v9, 0x3f3d2fb0, v52, -v9
	v_add_f32_e32 v12, v15, v12
	v_fma_f32 v15, 0x3f6eb680, v22, -v82
	v_mul_f32_e32 v83, 0xbf06c442, v64
	v_add_f32_e32 v13, v14, v13
	v_fmamk_f32 v14, v55, 0x3dbcf732, v70
	v_mul_f32_e32 v73, 0xbf2c7751, v26
	v_add_f32_e32 v8, v9, v8
	v_add_f32_e32 v9, v15, v12
	v_fma_f32 v12, 0xbf59a7d5, v19, -v83
	v_mul_f32_e32 v84, 0x3f7ee86f, v27
	v_fmac_f32_e32 v11, 0xbf763a35, v56
	v_add_f32_e32 v13, v14, v13
	v_fmamk_f32 v14, v24, 0x3f3d2fb0, v73
	v_add_f32_e32 v12, v12, v9
	v_fma_f32 v16, 0x3dbcf732, v20, -v84
	v_mul_f32_e32 v85, 0xbf2c7751, v23
	v_mul_f32_e32 v86, 0xbe3c28d5, v57
	v_add_f32_e32 v9, v11, v10
	v_mul_f32_e32 v72, 0xbe3c28d5, v58
	v_add_f32_e32 v10, v16, v12
	v_fma_f32 v11, 0x3f3d2fb0, v18, -v85
	v_add_f32_e32 v12, v14, v13
	v_fmamk_f32 v13, v51, 0xbf7ba420, v86
	v_mul_f32_e32 v78, 0x3f65296c, v56
	v_fma_f32 v15, 0xbe8c1d8e, v28, -v71
	v_add_f32_e32 v10, v11, v10
	v_fma_f32 v11, 0xbf7ba420, v52, -v72
	v_mul_f32_e32 v71, 0x3f65296c, v29
	v_add_f32_e32 v12, v13, v12
	v_fmamk_f32 v13, v50, 0x3ee437d1, v78
	v_mul_f32_e32 v87, 0xbf763a35, v49
	v_add_f32_e32 v10, v11, v10
	v_fma_f32 v14, 0x3ee437d1, v28, -v71
	v_mul_f32_e32 v88, 0xbf763a35, v31
	v_add_f32_e32 v11, v13, v12
	v_fmamk_f32 v12, v48, 0xbe8c1d8e, v87
	v_mul_f32_e32 v89, 0x3f06c442, v59
	;; [unrolled: 6-line block ×3, first 2 shown]
	v_add_f32_e32 v8, v15, v8
	v_add_f32_e32 v13, v38, v13
	v_fma_f32 v15, 0xbf59a7d5, v21, -v90
	v_mul_f32_e32 v92, 0x3f2c7751, v63
	v_add_f32_e32 v12, v14, v12
	v_fmamk_f32 v14, v53, 0x3f3d2fb0, v91
	v_mul_f32_e32 v93, 0xbf65296c, v61
	v_add_f32_e32 v13, v15, v13
	v_fma_f32 v15, 0x3f3d2fb0, v22, -v92
	v_mul_f32_e32 v74, 0xbf65296c, v64
	v_add_f32_e32 v12, v14, v12
	v_fmamk_f32 v14, v54, 0x3ee437d1, v93
	v_mul_f32_e32 v94, 0xbe3c28d5, v30
	v_add_f32_e32 v4, v75, v4
	v_add_f32_e32 v13, v15, v13
	v_fma_f32 v15, 0x3ee437d1, v19, -v74
	v_mul_f32_e32 v75, 0xbe3c28d5, v27
	v_add_f32_e32 v12, v14, v12
	v_fmamk_f32 v14, v55, 0xbf7ba420, v94
	v_mul_f32_e32 v95, 0x3f7ee86f, v26
	v_add_f32_e32 v13, v15, v13
	v_fma_f32 v15, 0xbf7ba420, v20, -v75
	v_mul_f32_e32 v76, 0x3f7ee86f, v23
	v_add_f32_e32 v12, v14, v12
	v_fmamk_f32 v14, v24, 0x3dbcf732, v95
	v_mul_f32_e32 v96, 0xbeb8f4ab, v57
	v_add_f32_e32 v13, v15, v13
	v_fma_f32 v15, 0x3dbcf732, v18, -v76
	v_mul_f32_e32 v77, 0xbeb8f4ab, v58
	v_add_f32_e32 v12, v14, v12
	v_fmamk_f32 v14, v51, 0x3f6eb680, v96
	v_mul_f32_e32 v97, 0xbf4c4adb, v56
	v_mul_f32_e32 v98, 0xbf7ee86f, v49
	v_add_f32_e32 v13, v15, v13
	v_fma_f32 v15, 0x3f6eb680, v52, -v77
	v_add_f32_e32 v12, v14, v12
	v_fmamk_f32 v14, v50, 0xbf1a4643, v97
	v_fmamk_f32 v16, v48, 0x3dbcf732, v98
	v_mul_f32_e32 v100, 0xbe3c28d5, v59
	v_add_f32_e32 v15, v15, v13
	v_mul_f32_e32 v102, 0x3f763a35, v60
	v_add_f32_e32 v13, v14, v12
	v_add_f32_e32 v14, v39, v16
	v_fmamk_f32 v16, v47, 0xbf7ba420, v100
	v_mul_f32_e32 v104, 0x3eb8f4ab, v61
	v_mul_f32_e32 v99, 0xbf4c4adb, v29
	;; [unrolled: 1-line block ×4, first 2 shown]
	v_add_f32_e32 v14, v16, v14
	v_fmamk_f32 v16, v53, 0xbe8c1d8e, v102
	v_fma_f32 v12, 0xbf1a4643, v28, -v99
	v_mul_f32_e32 v108, 0xbf06c442, v26
	v_mul_f32_e32 v103, 0xbe3c28d5, v62
	;; [unrolled: 1-line block ×3, first 2 shown]
	v_add_f32_e32 v14, v16, v14
	v_fmamk_f32 v16, v54, 0x3f6eb680, v104
	v_add_f32_e32 v12, v12, v15
	v_fma_f32 v15, 0x3dbcf732, v25, -v101
	v_fma_f32 v17, 0xbf7ba420, v21, -v103
	v_mul_f32_e32 v105, 0x3f763a35, v63
	v_add_f32_e32 v14, v16, v14
	v_fmamk_f32 v16, v55, 0x3ee437d1, v106
	v_add_f32_e32 v15, v38, v15
	v_mul_f32_e32 v112, 0xbf65296c, v49
	v_mul_f32_e32 v107, 0x3eb8f4ab, v64
	;; [unrolled: 1-line block ×3, first 2 shown]
	v_add_f32_e32 v14, v16, v14
	v_fmamk_f32 v16, v24, 0xbf59a7d5, v108
	v_add_f32_e32 v15, v17, v15
	v_fma_f32 v17, 0xbe8c1d8e, v22, -v105
	v_mul_f32_e32 v109, 0xbf65296c, v27
	v_fmamk_f32 v67, v47, 0xbf1a4643, v114
	v_add_f32_e32 v14, v16, v14
	v_fmamk_f32 v16, v51, 0xbf1a4643, v110
	v_add_f32_e32 v15, v17, v15
	v_fma_f32 v17, 0x3f6eb680, v19, -v107
	v_mul_f32_e32 v116, 0x3e3c28d5, v60
	v_mul_f32_e32 v111, 0xbf06c442, v23
	v_add_f32_e32 v14, v16, v14
	v_fmamk_f32 v16, v48, 0x3ee437d1, v112
	v_add_f32_e32 v15, v17, v15
	v_fma_f32 v17, 0x3ee437d1, v20, -v109
	v_mul_f32_e32 v118, 0x3f763a35, v61
	v_mul_f32_e32 v113, 0x3f4c4adb, v58
	v_add_f32_e32 v16, v39, v16
	v_mul_f32_e32 v120, 0x3f2c7751, v30
	v_add_f32_e32 v15, v17, v15
	v_fma_f32 v17, 0xbf59a7d5, v18, -v111
	v_mul_f32_e32 v115, 0x3f2c7751, v56
	v_add_f32_e32 v16, v67, v16
	v_fmamk_f32 v67, v53, 0xbf7ba420, v116
	v_fmamk_f32 v69, v55, 0x3f3d2fb0, v120
	v_add_f32_e32 v15, v17, v15
	v_fma_f32 v17, 0xbf1a4643, v52, -v113
	v_mul_f32_e32 v117, 0x3f2c7751, v29
	v_add_f32_e32 v16, v67, v16
	v_fmamk_f32 v67, v54, 0xbe8c1d8e, v118
	v_mul_f32_e32 v119, 0xbf65296c, v31
	v_add_f32_e32 v17, v17, v15
	v_fmamk_f32 v15, v50, 0x3f3d2fb0, v115
	v_mul_f32_e32 v126, 0xbf2c7751, v49
	v_add_f32_e32 v16, v67, v16
	v_mul_f32_e32 v67, 0xbeb8f4ab, v26
	v_mul_f32_e32 v121, 0xbf4c4adb, v62
	v_add_f32_e32 v15, v15, v14
	v_fma_f32 v14, 0x3f3d2fb0, v28, -v117
	v_add_f32_e32 v16, v69, v16
	v_fmamk_f32 v124, v24, 0x3f6eb680, v67
	v_mul_f32_e32 v69, 0xbf7ee86f, v57
	v_mul_f32_e32 v128, 0xbf7ee86f, v59
	v_add_f32_e32 v14, v14, v17
	v_fma_f32 v17, 0x3ee437d1, v25, -v119
	v_add_f32_e32 v16, v124, v16
	v_fmamk_f32 v124, v51, 0x3dbcf732, v69
	v_fma_f32 v122, 0xbf1a4643, v21, -v121
	v_mul_f32_e32 v123, 0x3e3c28d5, v63
	v_add_f32_e32 v17, v38, v17
	v_fmamk_f32 v130, v47, 0x3dbcf732, v128
	v_add_f32_e32 v16, v124, v16
	v_fmamk_f32 v124, v48, 0x3f3d2fb0, v126
	v_mul_f32_e32 v125, 0x3f763a35, v64
	v_add_f32_e32 v17, v122, v17
	v_fma_f32 v122, 0xbf7ba420, v22, -v123
	v_mul_f32_e32 v127, 0x3f2c7751, v27
	v_add_f32_e32 v124, v39, v124
	v_mul_f32_e32 v131, 0xbf4c4adb, v60
	v_mul_f32_e32 v136, 0xbf7ee86f, v62
	v_add_f32_e32 v17, v122, v17
	v_fma_f32 v122, 0xbe8c1d8e, v19, -v125
	v_add_f32_e32 v124, v130, v124
	v_mul_f32_e32 v130, 0xbf2c7751, v31
	v_mul_f32_e32 v129, 0xbeb8f4ab, v23
	v_fmamk_f32 v133, v53, 0xbf1a4643, v131
	v_add_f32_e32 v17, v122, v17
	v_fma_f32 v122, 0x3f3d2fb0, v20, -v127
	v_fma_f32 v135, 0x3f3d2fb0, v25, -v130
	v_mul_f32_e32 v134, 0xbe3c28d5, v61
	v_fma_f32 v138, 0x3dbcf732, v21, -v136
	v_mul_f32_e32 v139, 0xbf4c4adb, v63
	v_add_f32_e32 v17, v122, v17
	v_add_f32_e32 v135, v38, v135
	v_fma_f32 v122, 0x3f6eb680, v18, -v129
	v_mul_f32_e32 v132, 0xbf7ee86f, v58
	v_add_f32_e32 v124, v133, v124
	v_fmamk_f32 v133, v54, 0xbf7ba420, v134
	v_mul_f32_e32 v140, 0x3f06c442, v30
	v_add_f32_e32 v135, v138, v135
	v_fma_f32 v138, 0xbf1a4643, v22, -v139
	v_mul_f32_e32 v141, 0xbe3c28d5, v64
	v_add_f32_e32 v17, v122, v17
	v_fma_f32 v122, 0x3dbcf732, v52, -v132
	v_mul_f32_e32 v137, 0xbf06c442, v56
	v_add_f32_e32 v124, v133, v124
	v_fmamk_f32 v133, v55, 0xbf59a7d5, v140
	v_mul_f32_e32 v142, 0x3f763a35, v26
	v_add_f32_e32 v135, v138, v135
	v_fma_f32 v138, 0xbf7ba420, v19, -v141
	v_mul_f32_e32 v143, 0x3f06c442, v27
	v_add_f32_e32 v122, v122, v17
	v_fmamk_f32 v17, v50, 0xbf59a7d5, v137
	v_add_f32_e32 v124, v133, v124
	v_fmamk_f32 v133, v24, 0xbe8c1d8e, v142
	v_add_f32_e32 v135, v138, v135
	v_fma_f32 v138, 0xbf59a7d5, v20, -v143
	v_mul_f32_e32 v145, 0x3f763a35, v23
	v_mul_f32_e32 v144, 0xbf06c442, v29
	v_add_f32_e32 v17, v17, v16
	v_mul_f32_e32 v146, 0x3f65296c, v57
	v_add_f32_e32 v16, v133, v124
	v_add_f32_e32 v124, v138, v135
	v_fma_f32 v133, 0xbe8c1d8e, v18, -v145
	v_mul_f32_e32 v135, 0x3f65296c, v58
	v_fmamk_f32 v138, v51, 0x3ee437d1, v146
	v_mul_f32_e32 v147, 0x3eb8f4ab, v56
	v_fma_f32 v148, 0xbf59a7d5, v28, -v144
	v_add_f32_e32 v124, v133, v124
	v_fma_f32 v133, 0x3ee437d1, v52, -v135
	v_add_f32_e32 v138, v138, v16
	v_fmamk_f32 v149, v50, 0x3f6eb680, v147
	v_mul_f32_e32 v49, 0xbeb8f4ab, v49
	v_add_f32_e32 v16, v148, v122
	v_add_f32_e32 v122, v133, v124
	v_mul_f32_e32 v124, 0xbeb8f4ab, v31
	v_add_f32_e32 v31, v149, v138
	v_fmamk_f32 v133, v48, 0x3f6eb680, v49
	v_mul_f32_e32 v138, 0xbf2c7751, v59
	v_mul_f32_e32 v149, 0xbf2c7751, v62
	v_fma_f32 v59, 0x3f6eb680, v25, -v124
	v_mul_f32_e32 v150, 0xbf65296c, v60
	v_add_f32_e32 v62, v39, v133
	v_fmamk_f32 v133, v47, 0x3f3d2fb0, v138
	v_fma_f32 v60, 0x3f3d2fb0, v21, -v149
	v_add_f32_e32 v59, v38, v59
	v_mul_f32_e32 v151, 0xbf65296c, v63
	v_fmamk_f32 v63, v53, 0x3ee437d1, v150
	v_add_f32_e32 v62, v133, v62
	v_mul_f32_e32 v133, 0xbf7ee86f, v61
	v_add_f32_e32 v59, v60, v59
	v_fma_f32 v60, 0x3ee437d1, v22, -v151
	v_mul_f32_e32 v64, 0xbf7ee86f, v64
	v_add_f32_e32 v61, v63, v62
	v_fmamk_f32 v62, v54, 0x3dbcf732, v133
	v_mul_f32_e32 v152, 0xbf763a35, v30
	v_add_f32_e32 v30, v60, v59
	v_fma_f32 v59, 0x3dbcf732, v19, -v64
	v_mul_f32_e32 v153, 0xbf763a35, v27
	v_mul_f32_e32 v148, 0x3eb8f4ab, v29
	v_add_f32_e32 v27, v62, v61
	v_fmamk_f32 v60, v55, 0xbe8c1d8e, v152
	v_mul_f32_e32 v154, 0xbf4c4adb, v26
	v_add_f32_e32 v26, v59, v30
	v_fma_f32 v30, 0xbe8c1d8e, v20, -v153
	v_mul_f32_e32 v23, 0xbf4c4adb, v23
	v_add_f32_e32 v27, v60, v27
	v_fmamk_f32 v59, v24, 0xbf1a4643, v154
	v_mul_f32_e32 v155, 0xbf06c442, v57
	v_add_f32_e32 v26, v30, v26
	v_fma_f32 v30, 0xbf1a4643, v18, -v23
	v_mul_f32_e32 v156, 0xbf06c442, v58
	v_fma_f32 v57, 0x3f6eb680, v28, -v148
	v_add_f32_e32 v27, v59, v27
	v_fmamk_f32 v58, v51, 0xbf59a7d5, v155
	v_add_f32_e32 v26, v30, v26
	v_fma_f32 v59, 0xbf59a7d5, v52, -v156
	v_add_f32_e32 v30, v57, v122
	v_fma_f32 v57, 0xbf1a4643, v48, -v79
	v_fmac_f32_e32 v80, 0xbf1a4643, v25
	v_mul_f32_e32 v79, 0xbe3c28d5, v56
	v_add_f32_e32 v27, v58, v27
	v_add_f32_e32 v26, v59, v26
	;; [unrolled: 1-line block ×3, first 2 shown]
	v_fma_f32 v57, 0xbe8c1d8e, v47, -v68
	v_add_f32_e32 v58, v38, v80
	v_fmac_f32_e32 v81, 0xbe8c1d8e, v21
	v_mul_f32_e32 v29, 0xbe3c28d5, v29
	v_fmamk_f32 v59, v50, 0xbf7ba420, v79
	v_add_f32_e32 v56, v57, v56
	v_fma_f32 v57, 0x3f6eb680, v53, -v66
	v_add_f32_e32 v58, v81, v58
	v_fmac_f32_e32 v82, 0x3f6eb680, v22
	v_add_f32_e32 v27, v59, v27
	v_fma_f32 v59, 0xbf7ba420, v28, -v29
	v_add_f32_e32 v56, v57, v56
	v_fma_f32 v57, 0xbf59a7d5, v54, -v65
	v_add_f32_e32 v58, v82, v58
	v_fmac_f32_e32 v83, 0xbf59a7d5, v19
	v_add_f32_e32 v26, v59, v26
	v_fma_f32 v59, 0xbe8c1d8e, v48, -v87
	v_add_f32_e32 v56, v57, v56
	v_fma_f32 v57, 0x3dbcf732, v55, -v70
	v_add_f32_e32 v58, v83, v58
	v_fmac_f32_e32 v84, 0x3dbcf732, v20
	v_add_f32_e32 v59, v39, v59
	v_fma_f32 v60, 0xbf59a7d5, v47, -v89
	v_add_f32_e32 v56, v57, v56
	v_fma_f32 v57, 0x3f3d2fb0, v24, -v73
	v_add_f32_e32 v58, v84, v58
	v_fmac_f32_e32 v85, 0x3f3d2fb0, v18
	v_add_f32_e32 v59, v60, v59
	v_fma_f32 v60, 0x3f3d2fb0, v53, -v91
	v_add_f32_e32 v56, v57, v56
	v_fma_f32 v57, 0xbf7ba420, v51, -v86
	v_add_f32_e32 v58, v85, v58
	v_fmac_f32_e32 v72, 0xbf7ba420, v52
	v_add_f32_e32 v59, v60, v59
	v_fma_f32 v60, 0x3ee437d1, v54, -v93
	v_fmac_f32_e32 v88, 0xbe8c1d8e, v25
	v_add_f32_e32 v56, v57, v56
	v_add_f32_e32 v58, v72, v58
	v_fma_f32 v57, 0x3ee437d1, v50, -v78
	v_add_f32_e32 v59, v60, v59
	v_fma_f32 v60, 0xbf7ba420, v55, -v94
	v_add_f32_e32 v61, v38, v88
	v_fmac_f32_e32 v90, 0xbf59a7d5, v21
	v_fmac_f32_e32 v71, 0x3ee437d1, v28
	v_add_f32_e32 v57, v57, v56
	v_add_f32_e32 v59, v60, v59
	v_fma_f32 v60, 0x3dbcf732, v24, -v95
	v_add_f32_e32 v61, v90, v61
	v_fmac_f32_e32 v92, 0x3f3d2fb0, v22
	v_add_f32_e32 v56, v71, v58
	v_fma_f32 v58, 0x3dbcf732, v48, -v98
	v_add_f32_e32 v59, v60, v59
	v_fma_f32 v60, 0x3f6eb680, v51, -v96
	v_add_f32_e32 v61, v92, v61
	v_fmac_f32_e32 v74, 0x3ee437d1, v19
	v_add_f32_e32 v58, v39, v58
	v_fma_f32 v62, 0xbf7ba420, v47, -v100
	v_fmac_f32_e32 v101, 0x3dbcf732, v25
	v_add_f32_e32 v59, v60, v59
	v_add_f32_e32 v60, v74, v61
	v_fmac_f32_e32 v75, 0xbf7ba420, v20
	v_add_f32_e32 v58, v62, v58
	v_fma_f32 v61, 0xbe8c1d8e, v53, -v102
	v_add_f32_e32 v62, v38, v101
	v_fmac_f32_e32 v103, 0xbf7ba420, v21
	v_add_f32_e32 v60, v75, v60
	v_fmac_f32_e32 v76, 0x3dbcf732, v18
	v_add_f32_e32 v58, v61, v58
	v_fma_f32 v61, 0x3f6eb680, v54, -v104
	v_add_f32_e32 v62, v103, v62
	v_fmac_f32_e32 v105, 0xbe8c1d8e, v22
	;; [unrolled: 6-line block ×3, first 2 shown]
	v_add_f32_e32 v60, v77, v60
	v_fma_f32 v63, 0xbf1a4643, v50, -v97
	v_add_f32_e32 v58, v61, v58
	v_fma_f32 v61, 0xbf59a7d5, v24, -v108
	v_add_f32_e32 v62, v107, v62
	v_fmac_f32_e32 v109, 0x3ee437d1, v20
	v_fmac_f32_e32 v99, 0xbf1a4643, v28
	v_add_f32_e32 v59, v63, v59
	v_add_f32_e32 v61, v61, v58
	v_fma_f32 v63, 0xbf1a4643, v51, -v110
	v_add_f32_e32 v62, v109, v62
	v_fmac_f32_e32 v111, 0xbf59a7d5, v18
	v_add_f32_e32 v58, v99, v60
	v_fma_f32 v60, 0x3ee437d1, v48, -v112
	v_fmac_f32_e32 v119, 0x3ee437d1, v25
	v_add_f32_e32 v61, v63, v61
	v_add_f32_e32 v62, v111, v62
	v_fmac_f32_e32 v113, 0xbf1a4643, v52
	v_add_f32_e32 v60, v39, v60
	v_fma_f32 v63, 0xbf1a4643, v47, -v114
	v_add_f32_e32 v65, v38, v119
	v_fmac_f32_e32 v121, 0xbf1a4643, v21
	v_add_f32_e32 v62, v113, v62
	v_fma_f32 v66, 0x3f3d2fb0, v50, -v115
	v_add_f32_e32 v60, v63, v60
	v_fma_f32 v63, 0xbf7ba420, v53, -v116
	v_add_f32_e32 v65, v121, v65
	v_fmac_f32_e32 v123, 0xbf7ba420, v22
	v_fmac_f32_e32 v117, 0x3f3d2fb0, v28
	v_add_f32_e32 v61, v66, v61
	v_add_f32_e32 v63, v63, v60
	v_fma_f32 v66, 0xbe8c1d8e, v54, -v118
	v_add_f32_e32 v65, v123, v65
	v_fmac_f32_e32 v125, 0xbe8c1d8e, v19
	v_add_f32_e32 v60, v117, v62
	v_fma_f32 v62, 0x3f3d2fb0, v48, -v126
	v_add_f32_e32 v63, v66, v63
	v_fma_f32 v66, 0x3f3d2fb0, v55, -v120
	v_add_f32_e32 v65, v125, v65
	v_fmac_f32_e32 v127, 0x3f3d2fb0, v20
	v_add_f32_e32 v62, v39, v62
	v_fma_f32 v68, 0x3dbcf732, v47, -v128
	;; [unrolled: 6-line block ×5, first 2 shown]
	v_fmac_f32_e32 v130, 0x3f3d2fb0, v25
	v_add_f32_e32 v63, v66, v63
	v_add_f32_e32 v62, v144, v65
	v_fma_f32 v48, 0x3f6eb680, v48, -v49
	v_add_f32_e32 v49, v68, v67
	v_fma_f32 v65, 0xbe8c1d8e, v24, -v142
	v_add_f32_e32 v66, v38, v130
	v_fmac_f32_e32 v136, 0x3dbcf732, v21
	v_fmac_f32_e32 v124, 0x3f6eb680, v25
	v_add_f32_e32 v25, v39, v48
	v_add_f32_e32 v39, v65, v49
	v_fmac_f32_e32 v139, 0xbf1a4643, v22
	v_add_f32_e32 v49, v136, v66
	v_add_f32_e32 v38, v38, v124
	v_fma_f32 v47, 0x3f3d2fb0, v47, -v138
	v_fmac_f32_e32 v149, 0x3f3d2fb0, v21
	v_fmac_f32_e32 v141, 0xbf7ba420, v19
	v_add_f32_e32 v21, v139, v49
	v_fmac_f32_e32 v151, 0x3ee437d1, v22
	v_add_f32_e32 v25, v47, v25
	v_fma_f32 v47, 0x3ee437d1, v53, -v150
	v_add_f32_e32 v38, v149, v38
	v_add_f32_e32 v21, v141, v21
	v_fmac_f32_e32 v143, 0xbf59a7d5, v20
	v_fmac_f32_e32 v64, 0x3dbcf732, v19
	v_add_f32_e32 v22, v47, v25
	v_fma_f32 v25, 0x3dbcf732, v54, -v133
	v_add_f32_e32 v38, v151, v38
	v_add_f32_e32 v19, v143, v21
	v_fmac_f32_e32 v145, 0xbe8c1d8e, v18
	;; [unrolled: 6-line block ×3, first 2 shown]
	v_fmac_f32_e32 v23, 0xbf1a4643, v18
	v_add_f32_e32 v20, v22, v21
	v_fma_f32 v21, 0xbf1a4643, v24, -v154
	v_add_f32_e32 v22, v153, v25
	v_fma_f32 v48, 0x3ee437d1, v51, -v146
	v_add_f32_e32 v24, v135, v19
	v_fmac_f32_e32 v156, 0xbf59a7d5, v52
	v_add_f32_e32 v19, v21, v20
	v_fma_f32 v20, 0xbf59a7d5, v51, -v155
	v_add_f32_e32 v21, v23, v22
	v_mul_u32_u24_e32 v22, 0x88, v34
	v_add_f32_e32 v39, v48, v39
	v_fma_f32 v18, 0x3f6eb680, v50, -v147
	v_fmac_f32_e32 v148, 0x3f6eb680, v28
	v_add_f32_e32 v20, v20, v19
	v_fma_f32 v23, 0xbf7ba420, v50, -v79
	v_add_f32_e32 v25, v156, v21
	v_fmac_f32_e32 v29, 0xbf7ba420, v28
	v_add3_u32 v22, 0, v22, v42
	v_add_f32_e32 v19, v18, v39
	v_add_f32_e32 v18, v148, v24
	;; [unrolled: 1-line block ×4, first 2 shown]
	ds_write2_b64 v22, v[0:1], v[26:27] offset1:1
	ds_write2_b64 v22, v[30:31], v[16:17] offset0:2 offset1:3
	ds_write2_b64 v22, v[14:15], v[12:13] offset0:4 offset1:5
	;; [unrolled: 1-line block ×7, first 2 shown]
	ds_write_b64 v22, v[20:21] offset:128
.LBB0_21:
	s_or_b32 exec_lo, exec_lo, s1
	v_and_b32_e32 v0, 0xff, v34
	v_add_nc_u32_e32 v31, 0xcc, v34
	v_mov_b32_e32 v1, 0xf0f1
	v_add_nc_u32_e32 v2, 0x132, v34
	v_add_nc_u16 v59, v34, 0x66
	v_mul_lo_u16 v0, 0xf1, v0
	v_mov_b32_e32 v15, 4
	v_mul_u32_u24_sdwa v3, v31, v1 dst_sel:DWORD dst_unused:UNUSED_PAD src0_sel:WORD_0 src1_sel:DWORD
	s_waitcnt lgkmcnt(0)
	v_and_b32_e32 v60, 0xff, v59
	v_lshrrev_b16 v57, 12, v0
	v_mul_u32_u24_sdwa v0, v2, v1 dst_sel:DWORD dst_unused:UNUSED_PAD src0_sel:WORD_0 src1_sel:DWORD
	v_lshrrev_b32_e32 v58, 20, v3
	s_barrier
	buffer_gl0_inv
	v_mul_lo_u16 v1, v57, 17
	v_lshrrev_b32_e32 v61, 20, v0
	v_mul_lo_u16 v0, v58, 17
	v_cmp_gt_u32_e64 s0, 51, v34
	ds_read2_b64 v[19:22], v44 offset0:50 offset1:152
	v_sub_nc_u16 v62, v34, v1
	v_mul_lo_u16 v1, 0xf1, v60
	v_sub_nc_u16 v63, v31, v0
	v_mul_lo_u16 v3, v61, 17
	v_mov_b32_e32 v68, 3
	v_lshlrev_b32_sdwa v0, v15, v62 dst_sel:DWORD dst_unused:UNUSED_PAD src0_sel:DWORD src1_sel:BYTE_0
	v_lshrrev_b16 v64, 12, v1
	v_lshlrev_b32_sdwa v1, v15, v63 dst_sel:DWORD dst_unused:UNUSED_PAD src0_sel:DWORD src1_sel:WORD_0
	v_sub_nc_u16 v65, v2, v3
	v_and_b32_e32 v70, 0xffff, v57
	global_load_dwordx4 v[3:6], v0, s[12:13]
	v_mul_lo_u16 v60, 0xa1, v60
	global_load_dwordx4 v[7:10], v1, s[12:13]
	v_mul_lo_u16 v0, v64, 17
	v_lshlrev_b32_sdwa v2, v15, v65 dst_sel:DWORD dst_unused:UNUSED_PAD src0_sel:DWORD src1_sel:WORD_0
	v_mov_b32_e32 v1, 0xa0a1
	v_mad_u32_u24 v71, 0x198, v58, 0
	v_and_b32_e32 v64, 0xffff, v64
	v_sub_nc_u16 v66, v59, v0
	global_load_dwordx4 v[11:14], v2, s[12:13]
	v_mul_u32_u24_sdwa v69, v31, v1 dst_sel:DWORD dst_unused:UNUSED_PAD src0_sel:WORD_0 src1_sel:DWORD
	v_mov_b32_e32 v1, 0
	v_lshlrev_b32_sdwa v62, v68, v62 dst_sel:DWORD dst_unused:UNUSED_PAD src0_sel:DWORD src1_sel:BYTE_0
	v_lshlrev_b32_sdwa v0, v15, v66 dst_sel:DWORD dst_unused:UNUSED_PAD src0_sel:DWORD src1_sel:BYTE_0
	v_lshrrev_b16 v60, 13, v60
	v_lshrrev_b32_e32 v69, 21, v69
	v_mad_u32_u24 v64, 0x198, v64, 0
	v_lshlrev_b32_sdwa v63, v68, v63 dst_sel:DWORD dst_unused:UNUSED_PAD src0_sel:DWORD src1_sel:WORD_0
	global_load_dwordx4 v[15:18], v0, s[12:13]
	v_add_nc_u32_e32 v2, 0x1400, v35
	v_subrev_nc_u32_e32 v0, 51, v34
	ds_read2_b64 v[23:26], v35 offset0:102 offset1:204
	ds_read2_b64 v[27:30], v45 offset0:126 offset1:228
	;; [unrolled: 1-line block ×3, first 2 shown]
	ds_read_b64 v[38:39], v41
	ds_read_b64 v[55:56], v35 offset:8976
	v_mul_lo_u16 v72, v69, 51
	ds_read2_b64 v[51:54], v2 offset0:74 offset1:176
	v_cndmask_b32_e64 v67, v0, v34, s0
	v_add3_u32 v63, v71, v63, v42
	v_mad_u32_u24 v61, 0x198, v61, 0
	v_sub_nc_u16 v31, v31, v72
	v_lshlrev_b32_sdwa v65, v68, v65 dst_sel:DWORD dst_unused:UNUSED_PAD src0_sel:DWORD src1_sel:WORD_0
	v_mul_i32_i24_e32 v0, 3, v67
	s_waitcnt vmcnt(0) lgkmcnt(0)
	s_barrier
	buffer_gl0_inv
	v_add3_u32 v61, v61, v65, v42
	v_lshlrev_b64 v[57:58], 3, v[0:1]
	v_mad_u32_u24 v0, 0x198, v70, 0
	v_mul_lo_u16 v70, v60, 51
	v_add3_u32 v0, v0, v62, v42
	v_lshlrev_b32_sdwa v62, v68, v66 dst_sel:DWORD dst_unused:UNUSED_PAD src0_sel:DWORD src1_sel:BYTE_0
	v_sub_nc_u16 v59, v59, v70
	v_add_co_u32 v57, s0, s12, v57
	v_add_co_ci_u32_e64 v58, s0, s13, v58, s0
	v_add3_u32 v62, v64, v62, v42
	v_mul_u32_u24_sdwa v65, v59, v68 dst_sel:DWORD dst_unused:UNUSED_PAD src0_sel:BYTE_0 src1_sel:DWORD
	v_cmp_lt_u32_e64 s0, 50, v34
	v_mul_f32_e32 v64, v4, v22
	v_mul_f32_e32 v4, v4, v21
	;; [unrolled: 1-line block ×8, first 2 shown]
	v_fma_f32 v21, v3, v21, -v64
	v_mul_f32_e32 v72, v52, v12
	v_mul_f32_e32 v12, v51, v12
	;; [unrolled: 1-line block ×4, first 2 shown]
	v_fmac_f32_e32 v4, v3, v22
	v_fma_f32 v3, v5, v53, -v66
	v_fmac_f32_e32 v6, v5, v54
	v_fma_f32 v29, v29, v7, -v70
	v_fmac_f32_e32 v8, v30, v7
	v_mul_f32_e32 v5, v16, v28
	v_mul_f32_e32 v16, v16, v27
	;; [unrolled: 1-line block ×4, first 2 shown]
	v_fma_f32 v7, v49, v9, -v71
	v_fmac_f32_e32 v10, v50, v9
	v_fma_f32 v9, v51, v11, -v72
	v_fmac_f32_e32 v12, v52, v11
	;; [unrolled: 2-line block ×5, first 2 shown]
	v_add_f32_e32 v15, v38, v21
	v_add_f32_e32 v17, v21, v3
	;; [unrolled: 1-line block ×4, first 2 shown]
	v_sub_f32_e32 v22, v4, v6
	v_sub_f32_e32 v21, v21, v3
	v_add_f32_e32 v30, v25, v29
	v_sub_f32_e32 v48, v8, v10
	v_add_f32_e32 v49, v26, v8
	v_add_f32_e32 v8, v8, v10
	;; [unrolled: 1-line block ×5, first 2 shown]
	v_fma_f32 v38, -0.5, v17, v38
	v_add_f32_e32 v4, v27, v6
	v_fmac_f32_e32 v39, -0.5, v28
	v_add_f32_e32 v15, v23, v5
	v_add_f32_e32 v17, v5, v13
	v_sub_f32_e32 v27, v16, v18
	v_add_f32_e32 v28, v24, v16
	v_add_f32_e32 v16, v16, v18
	;; [unrolled: 1-line block ×4, first 2 shown]
	v_sub_f32_e32 v52, v12, v14
	v_add_f32_e32 v12, v12, v14
	v_sub_f32_e32 v29, v29, v7
	v_sub_f32_e32 v54, v9, v11
	v_sub_f32_e32 v55, v5, v13
	v_add_f32_e32 v5, v30, v7
	v_fmac_f32_e32 v26, -0.5, v8
	v_add_f32_e32 v7, v50, v11
	v_add_f32_e32 v8, v53, v14
	;; [unrolled: 1-line block ×3, first 2 shown]
	v_fma_f32 v13, -0.5, v17, v23
	v_fma_f32 v14, -0.5, v16, v24
	;; [unrolled: 1-line block ×3, first 2 shown]
	v_add_f32_e32 v6, v49, v10
	v_fma_f32 v19, -0.5, v51, v19
	v_fmac_f32_e32 v20, -0.5, v12
	v_fmamk_f32 v9, v22, 0x3f5db3d7, v38
	v_fmamk_f32 v10, v21, 0xbf5db3d7, v39
	v_fmac_f32_e32 v38, 0xbf5db3d7, v22
	v_fmac_f32_e32 v39, 0x3f5db3d7, v21
	v_add_f32_e32 v12, v28, v18
	v_fmamk_f32 v21, v27, 0x3f5db3d7, v13
	v_fmamk_f32 v22, v55, 0xbf5db3d7, v14
	v_fmac_f32_e32 v13, 0xbf5db3d7, v27
	v_fmac_f32_e32 v14, 0x3f5db3d7, v55
	v_fmamk_f32 v15, v48, 0x3f5db3d7, v25
	v_fmamk_f32 v16, v29, 0xbf5db3d7, v26
	v_fmac_f32_e32 v25, 0xbf5db3d7, v48
	v_fmac_f32_e32 v26, 0x3f5db3d7, v29
	v_fmamk_f32 v17, v52, 0x3f5db3d7, v19
	v_fmac_f32_e32 v19, 0xbf5db3d7, v52
	v_fmamk_f32 v18, v54, 0xbf5db3d7, v20
	v_fmac_f32_e32 v20, 0x3f5db3d7, v54
	ds_write2_b64 v0, v[3:4], v[9:10] offset1:17
	ds_write_b64 v0, v[38:39] offset:272
	ds_write2_b64 v62, v[11:12], v[21:22] offset1:17
	ds_write_b64 v62, v[13:14] offset:272
	;; [unrolled: 2-line block ×4, first 2 shown]
	v_mul_u32_u24_sdwa v11, v31, v68 dst_sel:DWORD dst_unused:UNUSED_PAD src0_sel:WORD_0 src1_sel:DWORD
	v_lshlrev_b32_e32 v0, 3, v65
	s_waitcnt lgkmcnt(0)
	s_barrier
	buffer_gl0_inv
	v_lshlrev_b32_e32 v15, 3, v11
	s_clause 0x5
	global_load_dwordx4 v[3:6], v[57:58], off offset:272
	global_load_dwordx2 v[38:39], v[57:58], off offset:288
	global_load_dwordx4 v[7:10], v0, s[12:13] offset:272
	global_load_dwordx2 v[51:52], v0, s[12:13] offset:288
	global_load_dwordx4 v[11:14], v15, s[12:13] offset:272
	global_load_dwordx2 v[53:54], v15, s[12:13] offset:288
	v_cndmask_b32_e64 v0, 0, 0x660, s0
	v_and_b32_e32 v19, 0xffff, v60
	v_mul_u32_u24_e32 v15, 5, v34
	v_lshlrev_b32_e32 v47, 3, v67
	v_mad_u32_u24 v48, 0x660, v69, 0
	v_add_nc_u32_e32 v0, 0, v0
	v_mad_u32_u24 v49, 0x660, v19, 0
	v_lshlrev_b32_sdwa v31, v68, v31 dst_sel:DWORD dst_unused:UNUSED_PAD src0_sel:DWORD src1_sel:WORD_0
	v_lshlrev_b32_sdwa v50, v68, v59 dst_sel:DWORD dst_unused:UNUSED_PAD src0_sel:DWORD src1_sel:BYTE_0
	v_lshlrev_b32_e32 v60, 3, v15
	ds_read2_b64 v[15:18], v44 offset0:50 offset1:152
	ds_read2_b64 v[19:22], v45 offset0:126 offset1:228
	;; [unrolled: 1-line block ×4, first 2 shown]
	v_add3_u32 v0, v0, v47, v42
	v_add3_u32 v31, v48, v31, v42
	;; [unrolled: 1-line block ×3, first 2 shown]
	ds_read2_b64 v[47:50], v35 offset0:102 offset1:204
	ds_read_b64 v[55:56], v41
	ds_read_b64 v[57:58], v35 offset:8976
	v_add_co_u32 v59, s0, s12, v60
	v_add_co_ci_u32_e64 v61, null, s13, 0, s0
	s_waitcnt vmcnt(0) lgkmcnt(0)
	s_barrier
	buffer_gl0_inv
	v_mul_f32_e32 v63, v4, v16
	v_mul_f32_e32 v4, v4, v15
	;; [unrolled: 1-line block ×18, first 2 shown]
	v_fma_f32 v15, v3, v15, -v63
	v_fmac_f32_e32 v4, v3, v16
	v_fma_f32 v3, v5, v21, -v64
	v_fmac_f32_e32 v6, v5, v22
	v_fma_f32 v5, v38, v23, -v65
	v_fmac_f32_e32 v39, v38, v24
	v_fma_f32 v16, v7, v17, -v66
	v_fmac_f32_e32 v8, v7, v18
	v_fma_f32 v7, v9, v27, -v67
	v_fmac_f32_e32 v10, v9, v28
	v_fma_f32 v9, v25, v51, -v68
	v_fmac_f32_e32 v52, v26, v51
	v_fma_f32 v17, v19, v11, -v69
	v_fmac_f32_e32 v12, v20, v11
	v_fma_f32 v11, v29, v13, -v70
	v_fmac_f32_e32 v14, v30, v13
	v_fma_f32 v13, v57, v53, -v71
	v_fmac_f32_e32 v54, v58, v53
	v_sub_f32_e32 v18, v55, v3
	v_sub_f32_e32 v19, v56, v6
	;; [unrolled: 1-line block ×12, first 2 shown]
	v_fma_f32 v24, v55, 2.0, -v18
	v_fma_f32 v25, v56, 2.0, -v19
	;; [unrolled: 1-line block ×8, first 2 shown]
	v_sub_f32_e32 v3, v18, v3
	v_fma_f32 v28, v49, 2.0, -v22
	v_fma_f32 v29, v50, 2.0, -v23
	;; [unrolled: 1-line block ×4, first 2 shown]
	v_add_f32_e32 v4, v19, v5
	v_sub_f32_e32 v5, v20, v7
	v_add_f32_e32 v6, v21, v6
	v_sub_f32_e32 v7, v22, v10
	;; [unrolled: 2-line block ×3, first 2 shown]
	v_sub_f32_e32 v10, v25, v13
	v_sub_f32_e32 v13, v26, v14
	;; [unrolled: 1-line block ×3, first 2 shown]
	v_fma_f32 v11, v18, 2.0, -v3
	v_sub_f32_e32 v17, v28, v17
	v_sub_f32_e32 v18, v29, v30
	v_fma_f32 v12, v19, 2.0, -v4
	v_fma_f32 v16, v21, 2.0, -v6
	;; [unrolled: 1-line block ×11, first 2 shown]
	ds_write2_b64 v0, v[9:10], v[3:4] offset0:102 offset1:153
	ds_write2_b64 v0, v[21:22], v[11:12] offset1:51
	ds_write2_b64 v62, v[23:24], v[15:16] offset1:51
	ds_write2_b64 v62, v[13:14], v[5:6] offset0:102 offset1:153
	ds_write2_b64 v31, v[25:26], v[19:20] offset1:51
	ds_write2_b64 v31, v[17:18], v[7:8] offset0:102 offset1:153
	v_add_co_u32 v11, s0, 0x1000, v59
	v_add_co_ci_u32_e64 v12, s0, 0, v61, s0
	v_add_co_u32 v19, s0, 0x15c8, v59
	v_add_co_ci_u32_e64 v20, s0, 0, v61, s0
	s_waitcnt lgkmcnt(0)
	s_barrier
	buffer_gl0_inv
	s_clause 0x5
	global_load_dwordx4 v[3:6], v60, s[12:13] offset:1512
	global_load_dwordx4 v[7:10], v60, s[12:13] offset:1496
	global_load_dwordx2 v[38:39], v60, s[12:13] offset:1528
	global_load_dwordx4 v[11:14], v[11:12], off offset:1480
	global_load_dwordx4 v[15:18], v[19:20], off offset:16
	global_load_dwordx2 v[51:52], v[19:20], off offset:32
	ds_read2_b64 v[19:22], v35 offset0:102 offset1:204
	ds_read2_b64 v[23:26], v44 offset0:50 offset1:152
	;; [unrolled: 1-line block ×4, first 2 shown]
	v_add_nc_u32_e32 v0, v43, v42
	ds_read2_b64 v[42:45], v46 offset0:150 offset1:252
	ds_read_b64 v[53:54], v41
	ds_read_b64 v[55:56], v35 offset:8976
	v_add_nc_u32_e32 v31, 0x600, v35
	s_waitcnt vmcnt(0) lgkmcnt(0)
	s_barrier
	buffer_gl0_inv
	v_add_nc_u32_e32 v46, 0x1200, v35
	v_add_nc_u32_e32 v57, 0x800, v0
	;; [unrolled: 1-line block ×3, first 2 shown]
	v_mul_f32_e32 v59, v4, v30
	v_mul_f32_e32 v2, v8, v22
	v_mul_f32_e32 v41, v8, v21
	v_mul_f32_e32 v4, v4, v29
	v_mul_f32_e32 v60, v6, v50
	v_mul_f32_e32 v6, v6, v49
	v_mul_f32_e32 v61, v39, v45
	v_mul_f32_e32 v39, v39, v44
	v_mul_f32_e32 v8, v10, v26
	v_mul_f32_e32 v10, v10, v25
	v_mul_f32_e32 v62, v24, v12
	v_mul_f32_e32 v12, v23, v12
	v_mul_f32_e32 v63, v28, v14
	v_mul_f32_e32 v14, v27, v14
	v_mul_f32_e32 v64, v48, v16
	v_mul_f32_e32 v16, v47, v16
	v_mul_f32_e32 v66, v56, v52
	v_mul_f32_e32 v52, v55, v52
	v_mul_f32_e32 v65, v43, v18
	v_mul_f32_e32 v18, v42, v18
	v_fma_f32 v21, v7, v21, -v2
	v_fmac_f32_e32 v41, v7, v22
	v_fma_f32 v7, v3, v29, -v59
	v_fmac_f32_e32 v4, v3, v30
	;; [unrolled: 2-line block ×5, first 2 shown]
	v_fmac_f32_e32 v12, v24, v11
	v_fma_f32 v8, v27, v13, -v63
	v_fmac_f32_e32 v14, v28, v13
	v_fma_f32 v9, v47, v15, -v64
	;; [unrolled: 2-line block ×4, first 2 shown]
	v_fmac_f32_e32 v18, v43, v17
	v_add_f32_e32 v26, v7, v5
	v_sub_f32_e32 v27, v4, v39
	v_add_f32_e32 v28, v41, v4
	v_add_f32_e32 v4, v4, v39
	v_fma_f32 v11, v42, v17, -v65
	v_add_f32_e32 v15, v53, v2
	v_add_f32_e32 v17, v2, v3
	v_sub_f32_e32 v23, v10, v6
	v_add_f32_e32 v24, v54, v10
	v_add_f32_e32 v10, v10, v6
	;; [unrolled: 1-line block ×4, first 2 shown]
	v_sub_f32_e32 v45, v16, v52
	v_add_f32_e32 v47, v12, v16
	v_add_f32_e32 v16, v16, v52
	v_sub_f32_e32 v7, v7, v5
	v_add_f32_e32 v29, v19, v8
	v_sub_f32_e32 v38, v14, v18
	v_add_f32_e32 v42, v20, v14
	v_add_f32_e32 v14, v14, v18
	;; [unrolled: 1-line block ×3, first 2 shown]
	v_fmac_f32_e32 v21, -0.5, v26
	v_fmac_f32_e32 v41, -0.5, v4
	v_sub_f32_e32 v2, v2, v3
	v_add_f32_e32 v30, v8, v11
	v_sub_f32_e32 v9, v9, v13
	v_add_f32_e32 v15, v15, v3
	v_fma_f32 v17, -0.5, v17, v53
	v_add_f32_e32 v6, v24, v6
	v_fmac_f32_e32 v54, -0.5, v10
	v_add_f32_e32 v5, v25, v5
	v_add_f32_e32 v10, v28, v39
	v_fmac_f32_e32 v22, -0.5, v44
	v_fmac_f32_e32 v12, -0.5, v16
	v_sub_f32_e32 v8, v8, v11
	v_add_f32_e32 v11, v29, v11
	v_add_f32_e32 v18, v42, v18
	v_fmac_f32_e32 v20, -0.5, v14
	v_add_f32_e32 v13, v43, v13
	v_add_f32_e32 v14, v47, v52
	v_fmamk_f32 v24, v27, 0x3f5db3d7, v21
	v_fmac_f32_e32 v21, 0xbf5db3d7, v27
	v_fmamk_f32 v25, v7, 0xbf5db3d7, v41
	v_fmac_f32_e32 v41, 0x3f5db3d7, v7
	v_fma_f32 v19, -0.5, v30, v19
	v_fmamk_f32 v16, v23, 0x3f5db3d7, v17
	v_fmac_f32_e32 v17, 0xbf5db3d7, v23
	v_fmamk_f32 v23, v2, 0xbf5db3d7, v54
	v_fmac_f32_e32 v54, 0x3f5db3d7, v2
	v_add_f32_e32 v2, v15, v5
	v_add_f32_e32 v3, v6, v10
	v_sub_f32_e32 v4, v15, v5
	v_sub_f32_e32 v5, v6, v10
	v_fmamk_f32 v10, v45, 0x3f5db3d7, v22
	v_fmac_f32_e32 v22, 0xbf5db3d7, v45
	v_fmamk_f32 v15, v9, 0xbf5db3d7, v12
	v_fmac_f32_e32 v12, 0x3f5db3d7, v9
	v_fmamk_f32 v27, v8, 0xbf5db3d7, v20
	v_fmac_f32_e32 v20, 0x3f5db3d7, v8
	v_add_f32_e32 v6, v11, v13
	v_add_f32_e32 v7, v18, v14
	v_sub_f32_e32 v8, v11, v13
	v_sub_f32_e32 v9, v18, v14
	v_mul_f32_e32 v11, 0x3f5db3d7, v25
	v_mul_f32_e32 v13, -0.5, v21
	v_mul_f32_e32 v14, 0xbf5db3d7, v24
	v_mul_f32_e32 v18, -0.5, v41
	v_fmamk_f32 v26, v38, 0x3f5db3d7, v19
	v_fmac_f32_e32 v19, 0xbf5db3d7, v38
	v_mul_f32_e32 v28, 0x3f5db3d7, v15
	v_mul_f32_e32 v29, -0.5, v22
	v_mul_f32_e32 v30, 0xbf5db3d7, v10
	v_mul_f32_e32 v38, -0.5, v12
	v_fmac_f32_e32 v11, 0.5, v24
	v_fmac_f32_e32 v13, 0x3f5db3d7, v41
	v_fmac_f32_e32 v14, 0.5, v25
	v_fmac_f32_e32 v18, 0xbf5db3d7, v21
	;; [unrolled: 2-line block ×4, first 2 shown]
	ds_write2_b64 v35, v[2:3], v[6:7] offset1:102
	v_add_f32_e32 v2, v16, v11
	v_add_f32_e32 v6, v17, v13
	;; [unrolled: 1-line block ×4, first 2 shown]
	v_sub_f32_e32 v10, v16, v11
	v_sub_f32_e32 v11, v23, v14
	v_sub_f32_e32 v12, v17, v13
	v_sub_f32_e32 v13, v54, v18
	v_add_f32_e32 v14, v26, v28
	v_add_f32_e32 v16, v19, v29
	;; [unrolled: 1-line block ×4, first 2 shown]
	v_sub_f32_e32 v18, v26, v28
	v_sub_f32_e32 v21, v19, v29
	;; [unrolled: 1-line block ×4, first 2 shown]
	ds_write2_b64 v31, v[2:3], v[6:7] offset0:12 offset1:216
	ds_write2_b64 v46, v[4:5], v[10:11] offset0:36 offset1:240
	ds_write_b64 v35, v[12:13] offset:8160
	ds_write2_b64 v57, v[14:15], v[16:17] offset0:50 offset1:254
	ds_write2_b64 v58, v[8:9], v[18:19] offset0:10 offset1:214
	ds_write_b64 v0, v[21:22] offset:8976
	s_waitcnt lgkmcnt(0)
	s_barrier
	buffer_gl0_inv
	s_and_saveexec_b32 s0, vcc_lo
	s_cbranch_execz .LBB0_23
; %bb.22:
	v_mul_lo_u32 v0, s3, v36
	v_mul_lo_u32 v4, s2, v37
	v_mad_u64_u32 v[2:3], null, s2, v36, 0
	v_lshl_add_u32 v18, v34, 3, v40
	v_mov_b32_e32 v35, v1
	v_lshlrev_b64 v[8:9], 3, v[32:33]
	v_lshlrev_b64 v[10:11], 3, v[34:35]
	v_add3_u32 v3, v3, v4, v0
	v_add_nc_u32_e32 v0, 0x66, v34
	v_lshlrev_b64 v[6:7], 3, v[2:3]
	ds_read2_b64 v[2:5], v18 offset1:102
	v_lshlrev_b64 v[12:13], 3, v[0:1]
	v_add_nc_u32_e32 v0, 0xcc, v34
	v_add_co_u32 v6, vcc_lo, s10, v6
	v_add_co_ci_u32_e32 v7, vcc_lo, s11, v7, vcc_lo
	v_lshlrev_b64 v[14:15], 3, v[0:1]
	v_add_co_u32 v20, vcc_lo, v6, v8
	v_add_nc_u32_e32 v6, 0x400, v18
	v_add_co_ci_u32_e32 v21, vcc_lo, v7, v9, vcc_lo
	v_add_co_u32 v10, vcc_lo, v20, v10
	ds_read2_b64 v[6:9], v6 offset0:76 offset1:178
	v_add_co_ci_u32_e32 v11, vcc_lo, v21, v11, vcc_lo
	v_add_co_u32 v12, vcc_lo, v20, v12
	v_add_nc_u32_e32 v0, 0x132, v34
	v_add_co_ci_u32_e32 v13, vcc_lo, v21, v13, vcc_lo
	s_waitcnt lgkmcnt(1)
	global_store_dwordx2 v[10:11], v[2:3], off
	global_store_dwordx2 v[12:13], v[4:5], off
	v_lshlrev_b64 v[2:3], 3, v[0:1]
	v_add_co_u32 v4, vcc_lo, v20, v14
	v_add_co_ci_u32_e32 v5, vcc_lo, v21, v15, vcc_lo
	v_add_nc_u32_e32 v0, 0x198, v34
	v_add_co_u32 v2, vcc_lo, v20, v2
	v_add_co_ci_u32_e32 v3, vcc_lo, v21, v3, vcc_lo
	v_add_nc_u32_e32 v12, 0x800, v18
	v_add_nc_u32_e32 v14, 0x1000, v18
	v_lshlrev_b64 v[10:11], 3, v[0:1]
	v_add_nc_u32_e32 v0, 0x1fe, v34
	s_waitcnt lgkmcnt(0)
	global_store_dwordx2 v[4:5], v[6:7], off
	global_store_dwordx2 v[2:3], v[8:9], off
	ds_read2_b64 v[2:5], v12 offset0:152 offset1:254
	ds_read2_b64 v[6:9], v14 offset0:100 offset1:202
	v_lshlrev_b64 v[12:13], 3, v[0:1]
	v_add_nc_u32_e32 v0, 0x264, v34
	v_add_co_u32 v10, vcc_lo, v20, v10
	v_add_co_ci_u32_e32 v11, vcc_lo, v21, v11, vcc_lo
	v_lshlrev_b64 v[14:15], 3, v[0:1]
	v_add_nc_u32_e32 v0, 0x2ca, v34
	v_add_co_u32 v12, vcc_lo, v20, v12
	v_add_co_ci_u32_e32 v13, vcc_lo, v21, v13, vcc_lo
	v_add_co_u32 v14, vcc_lo, v20, v14
	v_lshlrev_b64 v[16:17], 3, v[0:1]
	v_add_nc_u32_e32 v0, 0x330, v34
	v_add_co_ci_u32_e32 v15, vcc_lo, v21, v15, vcc_lo
	s_waitcnt lgkmcnt(1)
	global_store_dwordx2 v[10:11], v[2:3], off
	global_store_dwordx2 v[12:13], v[4:5], off
	s_waitcnt lgkmcnt(0)
	global_store_dwordx2 v[14:15], v[6:7], off
	v_add_nc_u32_e32 v2, 0x1800, v18
	v_lshlrev_b64 v[6:7], 3, v[0:1]
	v_add_nc_u32_e32 v0, 0x396, v34
	v_add_nc_u32_e32 v10, 0x1c00, v18
	v_add_co_u32 v14, vcc_lo, v20, v16
	v_add_co_ci_u32_e32 v15, vcc_lo, v21, v17, vcc_lo
	ds_read2_b64 v[2:5], v2 offset0:48 offset1:150
	v_lshlrev_b64 v[16:17], 3, v[0:1]
	v_add_nc_u32_e32 v0, 0x3fc, v34
	ds_read2_b64 v[10:13], v10 offset0:124 offset1:226
	v_add_co_u32 v6, vcc_lo, v20, v6
	v_add_co_ci_u32_e32 v7, vcc_lo, v21, v7, vcc_lo
	v_lshlrev_b64 v[18:19], 3, v[0:1]
	v_add_nc_u32_e32 v0, 0x462, v34
	v_add_co_u32 v16, vcc_lo, v20, v16
	v_add_co_ci_u32_e32 v17, vcc_lo, v21, v17, vcc_lo
	v_lshlrev_b64 v[0:1], 3, v[0:1]
	v_add_co_u32 v18, vcc_lo, v20, v18
	v_add_co_ci_u32_e32 v19, vcc_lo, v21, v19, vcc_lo
	v_add_co_u32 v0, vcc_lo, v20, v0
	v_add_co_ci_u32_e32 v1, vcc_lo, v21, v1, vcc_lo
	global_store_dwordx2 v[14:15], v[8:9], off
	s_waitcnt lgkmcnt(1)
	global_store_dwordx2 v[6:7], v[2:3], off
	global_store_dwordx2 v[16:17], v[4:5], off
	s_waitcnt lgkmcnt(0)
	global_store_dwordx2 v[18:19], v[10:11], off
	global_store_dwordx2 v[0:1], v[12:13], off
.LBB0_23:
	s_endpgm
	.section	.rodata,"a",@progbits
	.p2align	6, 0x0
	.amdhsa_kernel fft_rtc_fwd_len1224_factors_17_3_4_6_wgs_204_tpt_102_halfLds_sp_op_CI_CI_unitstride_sbrr_C2R_dirReg
		.amdhsa_group_segment_fixed_size 0
		.amdhsa_private_segment_fixed_size 0
		.amdhsa_kernarg_size 104
		.amdhsa_user_sgpr_count 6
		.amdhsa_user_sgpr_private_segment_buffer 1
		.amdhsa_user_sgpr_dispatch_ptr 0
		.amdhsa_user_sgpr_queue_ptr 0
		.amdhsa_user_sgpr_kernarg_segment_ptr 1
		.amdhsa_user_sgpr_dispatch_id 0
		.amdhsa_user_sgpr_flat_scratch_init 0
		.amdhsa_user_sgpr_private_segment_size 0
		.amdhsa_wavefront_size32 1
		.amdhsa_uses_dynamic_stack 0
		.amdhsa_system_sgpr_private_segment_wavefront_offset 0
		.amdhsa_system_sgpr_workgroup_id_x 1
		.amdhsa_system_sgpr_workgroup_id_y 0
		.amdhsa_system_sgpr_workgroup_id_z 0
		.amdhsa_system_sgpr_workgroup_info 0
		.amdhsa_system_vgpr_workitem_id 0
		.amdhsa_next_free_vgpr 157
		.amdhsa_next_free_sgpr 27
		.amdhsa_reserve_vcc 1
		.amdhsa_reserve_flat_scratch 0
		.amdhsa_float_round_mode_32 0
		.amdhsa_float_round_mode_16_64 0
		.amdhsa_float_denorm_mode_32 3
		.amdhsa_float_denorm_mode_16_64 3
		.amdhsa_dx10_clamp 1
		.amdhsa_ieee_mode 1
		.amdhsa_fp16_overflow 0
		.amdhsa_workgroup_processor_mode 1
		.amdhsa_memory_ordered 1
		.amdhsa_forward_progress 0
		.amdhsa_shared_vgpr_count 0
		.amdhsa_exception_fp_ieee_invalid_op 0
		.amdhsa_exception_fp_denorm_src 0
		.amdhsa_exception_fp_ieee_div_zero 0
		.amdhsa_exception_fp_ieee_overflow 0
		.amdhsa_exception_fp_ieee_underflow 0
		.amdhsa_exception_fp_ieee_inexact 0
		.amdhsa_exception_int_div_zero 0
	.end_amdhsa_kernel
	.text
.Lfunc_end0:
	.size	fft_rtc_fwd_len1224_factors_17_3_4_6_wgs_204_tpt_102_halfLds_sp_op_CI_CI_unitstride_sbrr_C2R_dirReg, .Lfunc_end0-fft_rtc_fwd_len1224_factors_17_3_4_6_wgs_204_tpt_102_halfLds_sp_op_CI_CI_unitstride_sbrr_C2R_dirReg
                                        ; -- End function
	.section	.AMDGPU.csdata,"",@progbits
; Kernel info:
; codeLenInByte = 11292
; NumSgprs: 29
; NumVgprs: 157
; ScratchSize: 0
; MemoryBound: 0
; FloatMode: 240
; IeeeMode: 1
; LDSByteSize: 0 bytes/workgroup (compile time only)
; SGPRBlocks: 3
; VGPRBlocks: 19
; NumSGPRsForWavesPerEU: 29
; NumVGPRsForWavesPerEU: 157
; Occupancy: 6
; WaveLimiterHint : 1
; COMPUTE_PGM_RSRC2:SCRATCH_EN: 0
; COMPUTE_PGM_RSRC2:USER_SGPR: 6
; COMPUTE_PGM_RSRC2:TRAP_HANDLER: 0
; COMPUTE_PGM_RSRC2:TGID_X_EN: 1
; COMPUTE_PGM_RSRC2:TGID_Y_EN: 0
; COMPUTE_PGM_RSRC2:TGID_Z_EN: 0
; COMPUTE_PGM_RSRC2:TIDIG_COMP_CNT: 0
	.text
	.p2alignl 6, 3214868480
	.fill 48, 4, 3214868480
	.type	__hip_cuid_714384006fbcaa8c,@object ; @__hip_cuid_714384006fbcaa8c
	.section	.bss,"aw",@nobits
	.globl	__hip_cuid_714384006fbcaa8c
__hip_cuid_714384006fbcaa8c:
	.byte	0                               ; 0x0
	.size	__hip_cuid_714384006fbcaa8c, 1

	.ident	"AMD clang version 19.0.0git (https://github.com/RadeonOpenCompute/llvm-project roc-6.4.0 25133 c7fe45cf4b819c5991fe208aaa96edf142730f1d)"
	.section	".note.GNU-stack","",@progbits
	.addrsig
	.addrsig_sym __hip_cuid_714384006fbcaa8c
	.amdgpu_metadata
---
amdhsa.kernels:
  - .args:
      - .actual_access:  read_only
        .address_space:  global
        .offset:         0
        .size:           8
        .value_kind:     global_buffer
      - .offset:         8
        .size:           8
        .value_kind:     by_value
      - .actual_access:  read_only
        .address_space:  global
        .offset:         16
        .size:           8
        .value_kind:     global_buffer
      - .actual_access:  read_only
        .address_space:  global
        .offset:         24
        .size:           8
        .value_kind:     global_buffer
      - .actual_access:  read_only
        .address_space:  global
        .offset:         32
        .size:           8
        .value_kind:     global_buffer
      - .offset:         40
        .size:           8
        .value_kind:     by_value
      - .actual_access:  read_only
        .address_space:  global
        .offset:         48
        .size:           8
        .value_kind:     global_buffer
      - .actual_access:  read_only
        .address_space:  global
        .offset:         56
        .size:           8
        .value_kind:     global_buffer
      - .offset:         64
        .size:           4
        .value_kind:     by_value
      - .actual_access:  read_only
        .address_space:  global
        .offset:         72
        .size:           8
        .value_kind:     global_buffer
      - .actual_access:  read_only
        .address_space:  global
        .offset:         80
        .size:           8
        .value_kind:     global_buffer
      - .actual_access:  read_only
        .address_space:  global
        .offset:         88
        .size:           8
        .value_kind:     global_buffer
      - .actual_access:  write_only
        .address_space:  global
        .offset:         96
        .size:           8
        .value_kind:     global_buffer
    .group_segment_fixed_size: 0
    .kernarg_segment_align: 8
    .kernarg_segment_size: 104
    .language:       OpenCL C
    .language_version:
      - 2
      - 0
    .max_flat_workgroup_size: 204
    .name:           fft_rtc_fwd_len1224_factors_17_3_4_6_wgs_204_tpt_102_halfLds_sp_op_CI_CI_unitstride_sbrr_C2R_dirReg
    .private_segment_fixed_size: 0
    .sgpr_count:     29
    .sgpr_spill_count: 0
    .symbol:         fft_rtc_fwd_len1224_factors_17_3_4_6_wgs_204_tpt_102_halfLds_sp_op_CI_CI_unitstride_sbrr_C2R_dirReg.kd
    .uniform_work_group_size: 1
    .uses_dynamic_stack: false
    .vgpr_count:     157
    .vgpr_spill_count: 0
    .wavefront_size: 32
    .workgroup_processor_mode: 1
amdhsa.target:   amdgcn-amd-amdhsa--gfx1030
amdhsa.version:
  - 1
  - 2
...

	.end_amdgpu_metadata
